;; amdgpu-corpus repo=ROCm/rocFFT kind=compiled arch=gfx1201 opt=O3
	.text
	.amdgcn_target "amdgcn-amd-amdhsa--gfx1201"
	.amdhsa_code_object_version 6
	.protected	fft_rtc_back_len910_factors_13_2_7_5_wgs_182_tpt_91_dp_op_CI_CI_unitstride_sbrr_R2C_dirReg ; -- Begin function fft_rtc_back_len910_factors_13_2_7_5_wgs_182_tpt_91_dp_op_CI_CI_unitstride_sbrr_R2C_dirReg
	.globl	fft_rtc_back_len910_factors_13_2_7_5_wgs_182_tpt_91_dp_op_CI_CI_unitstride_sbrr_R2C_dirReg
	.p2align	8
	.type	fft_rtc_back_len910_factors_13_2_7_5_wgs_182_tpt_91_dp_op_CI_CI_unitstride_sbrr_R2C_dirReg,@function
fft_rtc_back_len910_factors_13_2_7_5_wgs_182_tpt_91_dp_op_CI_CI_unitstride_sbrr_R2C_dirReg: ; @fft_rtc_back_len910_factors_13_2_7_5_wgs_182_tpt_91_dp_op_CI_CI_unitstride_sbrr_R2C_dirReg
; %bb.0:
	s_clause 0x2
	s_load_b128 s[8:11], s[0:1], 0x0
	s_load_b128 s[4:7], s[0:1], 0x58
	;; [unrolled: 1-line block ×3, first 2 shown]
	v_mul_u32_u24_e32 v1, 0x2d1, v0
	v_mov_b32_e32 v3, 0
	s_delay_alu instid0(VALU_DEP_2) | instskip(SKIP_2) | instid1(VALU_DEP_4)
	v_lshrrev_b32_e32 v7, 16, v1
	v_mov_b32_e32 v1, 0
	v_mov_b32_e32 v2, 0
	;; [unrolled: 1-line block ×3, first 2 shown]
	s_delay_alu instid0(VALU_DEP_4) | instskip(SKIP_2) | instid1(VALU_DEP_1)
	v_lshl_add_u32 v5, ttmp9, 1, v7
	s_wait_kmcnt 0x0
	v_cmp_lt_u64_e64 s2, s[10:11], 2
	s_and_b32 vcc_lo, exec_lo, s2
	s_cbranch_vccnz .LBB0_8
; %bb.1:
	s_load_b64 s[2:3], s[0:1], 0x10
	v_mov_b32_e32 v1, 0
	v_mov_b32_e32 v2, 0
	s_add_nc_u64 s[16:17], s[14:15], 8
	s_add_nc_u64 s[18:19], s[12:13], 8
	s_mov_b64 s[20:21], 1
	s_delay_alu instid0(VALU_DEP_1)
	v_dual_mov_b32 v65, v2 :: v_dual_mov_b32 v64, v1
	s_wait_kmcnt 0x0
	s_add_nc_u64 s[22:23], s[2:3], 8
	s_mov_b32 s3, 0
.LBB0_2:                                ; =>This Inner Loop Header: Depth=1
	s_load_b64 s[24:25], s[22:23], 0x0
                                        ; implicit-def: $vgpr68_vgpr69
	s_mov_b32 s2, exec_lo
	s_wait_kmcnt 0x0
	v_or_b32_e32 v4, s25, v6
	s_delay_alu instid0(VALU_DEP_1)
	v_cmpx_ne_u64_e32 0, v[3:4]
	s_wait_alu 0xfffe
	s_xor_b32 s26, exec_lo, s2
	s_cbranch_execz .LBB0_4
; %bb.3:                                ;   in Loop: Header=BB0_2 Depth=1
	s_cvt_f32_u32 s2, s24
	s_cvt_f32_u32 s27, s25
	s_sub_nc_u64 s[30:31], 0, s[24:25]
	s_wait_alu 0xfffe
	s_delay_alu instid0(SALU_CYCLE_1) | instskip(SKIP_1) | instid1(SALU_CYCLE_2)
	s_fmamk_f32 s2, s27, 0x4f800000, s2
	s_wait_alu 0xfffe
	v_s_rcp_f32 s2, s2
	s_delay_alu instid0(TRANS32_DEP_1) | instskip(SKIP_1) | instid1(SALU_CYCLE_2)
	s_mul_f32 s2, s2, 0x5f7ffffc
	s_wait_alu 0xfffe
	s_mul_f32 s27, s2, 0x2f800000
	s_wait_alu 0xfffe
	s_delay_alu instid0(SALU_CYCLE_2) | instskip(SKIP_1) | instid1(SALU_CYCLE_2)
	s_trunc_f32 s27, s27
	s_wait_alu 0xfffe
	s_fmamk_f32 s2, s27, 0xcf800000, s2
	s_cvt_u32_f32 s29, s27
	s_wait_alu 0xfffe
	s_delay_alu instid0(SALU_CYCLE_1) | instskip(SKIP_1) | instid1(SALU_CYCLE_2)
	s_cvt_u32_f32 s28, s2
	s_wait_alu 0xfffe
	s_mul_u64 s[34:35], s[30:31], s[28:29]
	s_wait_alu 0xfffe
	s_mul_hi_u32 s37, s28, s35
	s_mul_i32 s36, s28, s35
	s_mul_hi_u32 s2, s28, s34
	s_mul_i32 s33, s29, s34
	s_wait_alu 0xfffe
	s_add_nc_u64 s[36:37], s[2:3], s[36:37]
	s_mul_hi_u32 s27, s29, s34
	s_mul_hi_u32 s38, s29, s35
	s_add_co_u32 s2, s36, s33
	s_wait_alu 0xfffe
	s_add_co_ci_u32 s2, s37, s27
	s_mul_i32 s34, s29, s35
	s_add_co_ci_u32 s35, s38, 0
	s_wait_alu 0xfffe
	s_add_nc_u64 s[34:35], s[2:3], s[34:35]
	s_wait_alu 0xfffe
	v_add_co_u32 v4, s2, s28, s34
	s_delay_alu instid0(VALU_DEP_1) | instskip(SKIP_1) | instid1(VALU_DEP_1)
	s_cmp_lg_u32 s2, 0
	s_add_co_ci_u32 s29, s29, s35
	v_readfirstlane_b32 s28, v4
	s_wait_alu 0xfffe
	s_delay_alu instid0(VALU_DEP_1)
	s_mul_u64 s[30:31], s[30:31], s[28:29]
	s_wait_alu 0xfffe
	s_mul_hi_u32 s35, s28, s31
	s_mul_i32 s34, s28, s31
	s_mul_hi_u32 s2, s28, s30
	s_mul_i32 s33, s29, s30
	s_wait_alu 0xfffe
	s_add_nc_u64 s[34:35], s[2:3], s[34:35]
	s_mul_hi_u32 s27, s29, s30
	s_mul_hi_u32 s28, s29, s31
	s_wait_alu 0xfffe
	s_add_co_u32 s2, s34, s33
	s_add_co_ci_u32 s2, s35, s27
	s_mul_i32 s30, s29, s31
	s_add_co_ci_u32 s31, s28, 0
	s_wait_alu 0xfffe
	s_add_nc_u64 s[30:31], s[2:3], s[30:31]
	s_wait_alu 0xfffe
	v_add_co_u32 v4, s2, v4, s30
	s_delay_alu instid0(VALU_DEP_1) | instskip(SKIP_1) | instid1(VALU_DEP_1)
	s_cmp_lg_u32 s2, 0
	s_add_co_ci_u32 s2, s29, s31
	v_mul_hi_u32 v14, v5, v4
	s_wait_alu 0xfffe
	v_mad_co_u64_u32 v[8:9], null, v5, s2, 0
	v_mad_co_u64_u32 v[10:11], null, v6, v4, 0
	;; [unrolled: 1-line block ×3, first 2 shown]
	s_delay_alu instid0(VALU_DEP_3) | instskip(SKIP_1) | instid1(VALU_DEP_4)
	v_add_co_u32 v4, vcc_lo, v14, v8
	s_wait_alu 0xfffd
	v_add_co_ci_u32_e32 v8, vcc_lo, 0, v9, vcc_lo
	s_delay_alu instid0(VALU_DEP_2) | instskip(SKIP_1) | instid1(VALU_DEP_2)
	v_add_co_u32 v4, vcc_lo, v4, v10
	s_wait_alu 0xfffd
	v_add_co_ci_u32_e32 v4, vcc_lo, v8, v11, vcc_lo
	s_wait_alu 0xfffd
	v_add_co_ci_u32_e32 v8, vcc_lo, 0, v13, vcc_lo
	s_delay_alu instid0(VALU_DEP_2) | instskip(SKIP_1) | instid1(VALU_DEP_2)
	v_add_co_u32 v4, vcc_lo, v4, v12
	s_wait_alu 0xfffd
	v_add_co_ci_u32_e32 v10, vcc_lo, 0, v8, vcc_lo
	s_delay_alu instid0(VALU_DEP_2) | instskip(SKIP_1) | instid1(VALU_DEP_3)
	v_mul_lo_u32 v11, s25, v4
	v_mad_co_u64_u32 v[8:9], null, s24, v4, 0
	v_mul_lo_u32 v12, s24, v10
	s_delay_alu instid0(VALU_DEP_2) | instskip(NEXT) | instid1(VALU_DEP_2)
	v_sub_co_u32 v8, vcc_lo, v5, v8
	v_add3_u32 v9, v9, v12, v11
	s_delay_alu instid0(VALU_DEP_1) | instskip(SKIP_1) | instid1(VALU_DEP_1)
	v_sub_nc_u32_e32 v11, v6, v9
	s_wait_alu 0xfffd
	v_subrev_co_ci_u32_e64 v11, s2, s25, v11, vcc_lo
	v_add_co_u32 v12, s2, v4, 2
	s_wait_alu 0xf1ff
	v_add_co_ci_u32_e64 v13, s2, 0, v10, s2
	v_sub_co_u32 v14, s2, v8, s24
	v_sub_co_ci_u32_e32 v9, vcc_lo, v6, v9, vcc_lo
	s_wait_alu 0xf1ff
	v_subrev_co_ci_u32_e64 v11, s2, 0, v11, s2
	s_delay_alu instid0(VALU_DEP_3) | instskip(NEXT) | instid1(VALU_DEP_3)
	v_cmp_le_u32_e32 vcc_lo, s24, v14
	v_cmp_eq_u32_e64 s2, s25, v9
	s_wait_alu 0xfffd
	v_cndmask_b32_e64 v14, 0, -1, vcc_lo
	v_cmp_le_u32_e32 vcc_lo, s25, v11
	s_wait_alu 0xfffd
	v_cndmask_b32_e64 v15, 0, -1, vcc_lo
	v_cmp_le_u32_e32 vcc_lo, s24, v8
	;; [unrolled: 3-line block ×3, first 2 shown]
	s_wait_alu 0xfffd
	v_cndmask_b32_e64 v16, 0, -1, vcc_lo
	v_cmp_eq_u32_e32 vcc_lo, s25, v11
	s_wait_alu 0xf1ff
	s_delay_alu instid0(VALU_DEP_2)
	v_cndmask_b32_e64 v8, v16, v8, s2
	s_wait_alu 0xfffd
	v_cndmask_b32_e32 v11, v15, v14, vcc_lo
	v_add_co_u32 v14, vcc_lo, v4, 1
	s_wait_alu 0xfffd
	v_add_co_ci_u32_e32 v15, vcc_lo, 0, v10, vcc_lo
	s_delay_alu instid0(VALU_DEP_3) | instskip(SKIP_2) | instid1(VALU_DEP_3)
	v_cmp_ne_u32_e32 vcc_lo, 0, v11
	s_wait_alu 0xfffd
	v_cndmask_b32_e32 v11, v14, v12, vcc_lo
	v_cndmask_b32_e32 v9, v15, v13, vcc_lo
	v_cmp_ne_u32_e32 vcc_lo, 0, v8
	s_wait_alu 0xfffd
	s_delay_alu instid0(VALU_DEP_2)
	v_dual_cndmask_b32 v68, v4, v11 :: v_dual_cndmask_b32 v69, v10, v9
.LBB0_4:                                ;   in Loop: Header=BB0_2 Depth=1
	s_wait_alu 0xfffe
	s_and_not1_saveexec_b32 s2, s26
	s_cbranch_execz .LBB0_6
; %bb.5:                                ;   in Loop: Header=BB0_2 Depth=1
	v_cvt_f32_u32_e32 v4, s24
	s_sub_co_i32 s26, 0, s24
	v_mov_b32_e32 v69, v3
	s_delay_alu instid0(VALU_DEP_2) | instskip(NEXT) | instid1(TRANS32_DEP_1)
	v_rcp_iflag_f32_e32 v4, v4
	v_mul_f32_e32 v4, 0x4f7ffffe, v4
	s_delay_alu instid0(VALU_DEP_1) | instskip(SKIP_1) | instid1(VALU_DEP_1)
	v_cvt_u32_f32_e32 v4, v4
	s_wait_alu 0xfffe
	v_mul_lo_u32 v8, s26, v4
	s_delay_alu instid0(VALU_DEP_1) | instskip(NEXT) | instid1(VALU_DEP_1)
	v_mul_hi_u32 v8, v4, v8
	v_add_nc_u32_e32 v4, v4, v8
	s_delay_alu instid0(VALU_DEP_1) | instskip(NEXT) | instid1(VALU_DEP_1)
	v_mul_hi_u32 v4, v5, v4
	v_mul_lo_u32 v8, v4, s24
	s_delay_alu instid0(VALU_DEP_1) | instskip(NEXT) | instid1(VALU_DEP_1)
	v_sub_nc_u32_e32 v8, v5, v8
	v_subrev_nc_u32_e32 v10, s24, v8
	v_cmp_le_u32_e32 vcc_lo, s24, v8
	s_wait_alu 0xfffd
	s_delay_alu instid0(VALU_DEP_2) | instskip(NEXT) | instid1(VALU_DEP_1)
	v_dual_cndmask_b32 v8, v8, v10 :: v_dual_add_nc_u32 v9, 1, v4
	v_cndmask_b32_e32 v4, v4, v9, vcc_lo
	s_delay_alu instid0(VALU_DEP_2) | instskip(NEXT) | instid1(VALU_DEP_2)
	v_cmp_le_u32_e32 vcc_lo, s24, v8
	v_add_nc_u32_e32 v9, 1, v4
	s_wait_alu 0xfffd
	s_delay_alu instid0(VALU_DEP_1)
	v_cndmask_b32_e32 v68, v4, v9, vcc_lo
.LBB0_6:                                ;   in Loop: Header=BB0_2 Depth=1
	s_wait_alu 0xfffe
	s_or_b32 exec_lo, exec_lo, s2
	v_mul_lo_u32 v4, v69, s24
	s_delay_alu instid0(VALU_DEP_2)
	v_mul_lo_u32 v10, v68, s25
	s_load_b64 s[26:27], s[18:19], 0x0
	v_mad_co_u64_u32 v[8:9], null, v68, s24, 0
	s_load_b64 s[24:25], s[16:17], 0x0
	s_add_nc_u64 s[20:21], s[20:21], 1
	s_add_nc_u64 s[16:17], s[16:17], 8
	s_wait_alu 0xfffe
	v_cmp_ge_u64_e64 s2, s[20:21], s[10:11]
	s_add_nc_u64 s[18:19], s[18:19], 8
	s_add_nc_u64 s[22:23], s[22:23], 8
	v_add3_u32 v4, v9, v10, v4
	v_sub_co_u32 v5, vcc_lo, v5, v8
	s_wait_alu 0xfffd
	s_delay_alu instid0(VALU_DEP_2) | instskip(SKIP_2) | instid1(VALU_DEP_1)
	v_sub_co_ci_u32_e32 v4, vcc_lo, v6, v4, vcc_lo
	s_and_b32 vcc_lo, exec_lo, s2
	s_wait_kmcnt 0x0
	v_mul_lo_u32 v6, s26, v4
	v_mul_lo_u32 v8, s27, v5
	v_mad_co_u64_u32 v[1:2], null, s26, v5, v[1:2]
	v_mul_lo_u32 v4, s24, v4
	v_mul_lo_u32 v9, s25, v5
	v_mad_co_u64_u32 v[64:65], null, s24, v5, v[64:65]
	s_delay_alu instid0(VALU_DEP_4) | instskip(NEXT) | instid1(VALU_DEP_2)
	v_add3_u32 v2, v8, v2, v6
	v_add3_u32 v65, v9, v65, v4
	s_wait_alu 0xfffe
	s_cbranch_vccnz .LBB0_9
; %bb.7:                                ;   in Loop: Header=BB0_2 Depth=1
	v_dual_mov_b32 v5, v68 :: v_dual_mov_b32 v6, v69
	s_branch .LBB0_2
.LBB0_8:
	v_dual_mov_b32 v65, v2 :: v_dual_mov_b32 v64, v1
	v_dual_mov_b32 v69, v6 :: v_dual_mov_b32 v68, v5
.LBB0_9:
	s_load_b64 s[0:1], s[0:1], 0x28
	v_and_b32_e32 v4, 1, v7
	v_mul_hi_u32 v3, 0x2d02d03, v0
                                        ; implicit-def: $vgpr66
	s_wait_kmcnt 0x0
	v_cmp_gt_u64_e32 vcc_lo, s[0:1], v[68:69]
	v_cmp_le_u64_e64 s1, s[0:1], v[68:69]
	v_cmp_eq_u32_e64 s0, 1, v4
	s_delay_alu instid0(VALU_DEP_2)
	s_and_saveexec_b32 s2, s1
	s_wait_alu 0xfffe
	s_xor_b32 s1, exec_lo, s2
; %bb.10:
	v_mul_u32_u24_e32 v1, 0x5b, v3
                                        ; implicit-def: $vgpr3
	s_delay_alu instid0(VALU_DEP_1)
	v_sub_nc_u32_e32 v66, v0, v1
                                        ; implicit-def: $vgpr0
                                        ; implicit-def: $vgpr1_vgpr2
; %bb.11:
	s_wait_alu 0xfffe
	s_or_saveexec_b32 s1, s1
	v_cndmask_b32_e64 v67, 0, 0x38f, s0
	s_lshl_b64 s[40:41], s[10:11], 3
	s_delay_alu instid0(VALU_DEP_1)
	v_lshlrev_b32_e32 v195, 4, v67
	s_wait_alu 0xfffe
	s_xor_b32 exec_lo, exec_lo, s1
	s_cbranch_execz .LBB0_13
; %bb.12:
	s_add_nc_u64 s[2:3], s[12:13], s[40:41]
	v_lshlrev_b64_e32 v[1:2], 4, v[1:2]
	s_load_b64 s[2:3], s[2:3], 0x0
	s_wait_kmcnt 0x0
	v_mul_lo_u32 v6, s3, v68
	v_mul_lo_u32 v7, s2, v69
	v_mad_co_u64_u32 v[4:5], null, s2, v68, 0
	s_delay_alu instid0(VALU_DEP_1) | instskip(SKIP_1) | instid1(VALU_DEP_2)
	v_add3_u32 v5, v5, v7, v6
	v_mul_u32_u24_e32 v6, 0x5b, v3
	v_lshlrev_b64_e32 v[3:4], 4, v[4:5]
	s_delay_alu instid0(VALU_DEP_2) | instskip(NEXT) | instid1(VALU_DEP_1)
	v_sub_nc_u32_e32 v66, v0, v6
	v_lshlrev_b32_e32 v40, 4, v66
	s_delay_alu instid0(VALU_DEP_3) | instskip(SKIP_1) | instid1(VALU_DEP_4)
	v_add_co_u32 v0, s0, s4, v3
	s_wait_alu 0xf1ff
	v_add_co_ci_u32_e64 v3, s0, s5, v4, s0
	s_delay_alu instid0(VALU_DEP_2) | instskip(SKIP_1) | instid1(VALU_DEP_2)
	v_add_co_u32 v0, s0, v0, v1
	s_wait_alu 0xf1ff
	v_add_co_ci_u32_e64 v1, s0, v3, v2, s0
	s_delay_alu instid0(VALU_DEP_2) | instskip(SKIP_1) | instid1(VALU_DEP_2)
	v_add_co_u32 v36, s0, v0, v40
	s_wait_alu 0xf1ff
	v_add_co_ci_u32_e64 v37, s0, 0, v1, s0
	s_clause 0x9
	global_load_b128 v[0:3], v[36:37], off
	global_load_b128 v[4:7], v[36:37], off offset:1456
	global_load_b128 v[8:11], v[36:37], off offset:2912
	;; [unrolled: 1-line block ×9, first 2 shown]
	v_add3_u32 v40, 0, v195, v40
	s_wait_loadcnt 0x9
	ds_store_b128 v40, v[0:3]
	s_wait_loadcnt 0x8
	ds_store_b128 v40, v[4:7] offset:1456
	s_wait_loadcnt 0x7
	ds_store_b128 v40, v[8:11] offset:2912
	;; [unrolled: 2-line block ×9, first 2 shown]
.LBB0_13:
	s_or_b32 exec_lo, exec_lo, s1
	v_lshlrev_b32_e32 v192, 4, v66
	global_wb scope:SCOPE_SE
	s_wait_dscnt 0x0
	s_barrier_signal -1
	s_barrier_wait -1
	global_inv scope:SCOPE_SE
	v_add_nc_u32_e32 v194, 0, v192
	v_add_nc_u32_e32 v190, 0, v195
	s_mov_b32 s38, 0x4267c47c
	s_mov_b32 s10, 0xe00740e9
	;; [unrolled: 1-line block ×3, first 2 shown]
	v_add_nc_u32_e32 v193, v194, v195
	v_add_nc_u32_e32 v191, v190, v192
	s_mov_b32 s2, 0x1ea71119
	s_mov_b32 s18, 0x66966769
	;; [unrolled: 1-line block ×3, first 2 shown]
	ds_load_b128 v[12:15], v193 offset:13440
	ds_load_b128 v[40:43], v193 offset:1120
	ds_load_b128 v[24:27], v191
	ds_load_b128 v[16:19], v193 offset:12320
	ds_load_b128 v[48:51], v193 offset:2240
	s_mov_b32 s39, 0xbfddbe06
	s_mov_b32 s11, 0x3fec55a7
	s_mov_b32 s13, 0xbfea55e2
	s_mov_b32 s3, 0x3fe22d96
	s_mov_b32 s19, 0xbfefc445
	s_mov_b32 s5, 0x3fbedb7d
	ds_load_b128 v[52:55], v193 offset:3360
	ds_load_b128 v[20:23], v193 offset:11200
	s_mov_b32 s16, 0xb2365da1
	s_mov_b32 s22, 0x2ef20147
	;; [unrolled: 1-line block ×8, first 2 shown]
	ds_load_b128 v[28:31], v193 offset:10080
	ds_load_b128 v[60:63], v193 offset:4480
	s_wait_dscnt 0x7
	v_add_f64_e64 v[186:187], v[42:43], -v[14:15]
	v_add_f64_e32 v[88:89], v[42:43], v[14:15]
	s_wait_dscnt 0x4
	v_add_f64_e64 v[70:71], v[50:51], -v[18:19]
	v_add_f64_e32 v[72:73], v[50:51], v[18:19]
	v_add_f64_e32 v[108:109], v[40:41], v[12:13]
	v_add_f64_e64 v[188:189], v[40:41], -v[12:13]
	v_add_f64_e32 v[140:141], v[48:49], v[16:17]
	v_add_f64_e64 v[168:169], v[48:49], -v[16:17]
	s_mov_b32 s43, 0x3fedeba7
	s_wait_dscnt 0x2
	v_add_f64_e64 v[164:165], v[54:55], -v[22:23]
	v_add_f64_e32 v[170:171], v[54:55], v[22:23]
	s_mov_b32 s42, s22
	v_add_f64_e32 v[152:153], v[52:53], v[20:21]
	v_add_f64_e64 v[178:179], v[52:53], -v[20:21]
	ds_load_b128 v[56:59], v193 offset:5600
	ds_load_b128 v[32:35], v193 offset:8960
	s_mov_b32 s26, 0xd0032e0c
	s_mov_b32 s36, 0x24c2f84
	;; [unrolled: 1-line block ×4, first 2 shown]
	s_wait_dscnt 0x2
	v_add_f64_e64 v[130:131], v[62:63], -v[30:31]
	v_add_f64_e32 v[82:83], v[62:63], v[30:31]
	s_mov_b32 s29, 0x3fddbe06
	s_mov_b32 s28, s38
	v_add_f64_e32 v[104:105], v[60:61], v[28:29]
	v_add_f64_e64 v[142:143], v[60:61], -v[28:29]
	ds_load_b128 v[44:47], v193 offset:6720
	ds_load_b128 v[36:39], v193 offset:7840
	s_mov_b32 s35, 0xbfe5384d
	s_mov_b32 s31, 0x3fefc445
	;; [unrolled: 1-line block ×4, first 2 shown]
	s_add_nc_u64 s[14:15], s[14:15], s[40:41]
	s_mov_b32 s33, exec_lo
	global_wb scope:SCOPE_SE
	s_wait_dscnt 0x0
	s_barrier_signal -1
	v_add_f64_e64 v[128:129], v[58:59], -v[34:35]
	v_add_f64_e32 v[76:77], v[58:59], v[34:35]
	v_add_f64_e32 v[96:97], v[56:57], v[32:33]
	v_add_f64_e64 v[138:139], v[56:57], -v[32:33]
	v_mul_f64_e32 v[78:79], s[38:39], v[186:187]
	s_wait_alu 0xfffe
	v_mul_f64_e32 v[80:81], s[10:11], v[88:89]
	v_mul_f64_e32 v[156:157], s[12:13], v[186:187]
	;; [unrolled: 1-line block ×17, first 2 shown]
	v_add_f64_e64 v[134:135], v[46:47], -v[38:39]
	v_mul_f64_e32 v[118:119], s[22:23], v[130:131]
	v_mul_f64_e32 v[120:121], s[16:17], v[82:83]
	;; [unrolled: 1-line block ×6, first 2 shown]
	s_barrier_wait -1
	global_inv scope:SCOPE_SE
	v_mul_f64_e32 v[102:103], s[34:35], v[128:129]
	v_mul_f64_e32 v[106:107], s[26:27], v[76:77]
	;; [unrolled: 1-line block ×4, first 2 shown]
	v_fma_f64 v[0:1], v[108:109], s[10:11], -v[78:79]
	v_fma_f64 v[2:3], v[188:189], s[38:39], v[80:81]
	v_fma_f64 v[4:5], v[108:109], s[2:3], -v[156:157]
	v_fma_f64 v[6:7], v[188:189], s[12:13], v[162:163]
	;; [unrolled: 2-line block ×8, first 2 shown]
	v_fma_f64 v[198:199], v[152:153], s[16:17], -v[180:181]
	v_mul_f64_e32 v[114:115], s[12:13], v[128:129]
	v_mul_f64_e32 v[116:117], s[2:3], v[76:77]
	v_fma_f64 v[200:201], v[104:105], s[16:17], -v[118:119]
	v_fma_f64 v[202:203], v[142:143], s[22:23], v[120:121]
	v_fma_f64 v[204:205], v[104:105], s[26:27], -v[122:123]
	v_fma_f64 v[206:207], v[142:143], s[36:37], v[124:125]
	;; [unrolled: 2-line block ×4, first 2 shown]
	v_add_f64_e32 v[0:1], v[24:25], v[0:1]
	v_add_f64_e32 v[2:3], v[26:27], v[2:3]
	;; [unrolled: 1-line block ×8, first 2 shown]
	v_fma_f64 v[84:85], v[178:179], s[42:43], v[182:183]
	v_add_f64_e32 v[4:5], v[86:87], v[4:5]
	v_add_f64_e32 v[6:7], v[90:91], v[6:7]
	v_add_f64_e32 v[8:9], v[92:93], v[8:9]
	v_add_f64_e32 v[10:11], v[94:95], v[10:11]
	v_add_f64_e32 v[74:75], v[46:47], v[38:39]
	v_mul_f64_e32 v[86:87], s[24:25], v[134:135]
	v_mul_f64_e32 v[92:93], s[28:29], v[134:135]
	v_add_f64_e32 v[0:1], v[98:99], v[0:1]
	v_add_f64_e32 v[2:3], v[100:101], v[2:3]
	v_mul_f64_e32 v[98:99], s[34:35], v[134:135]
	v_add_f64_e32 v[4:5], v[146:147], v[4:5]
	v_add_f64_e32 v[6:7], v[196:197], v[6:7]
	;; [unrolled: 1-line block ×5, first 2 shown]
	v_add_f64_e64 v[146:147], v[44:45], -v[36:37]
	v_mul_f64_e32 v[90:91], s[20:21], v[74:75]
	v_mul_f64_e32 v[94:95], s[10:11], v[74:75]
	;; [unrolled: 1-line block ×3, first 2 shown]
	v_fma_f64 v[196:197], v[96:97], s[26:27], -v[102:103]
	v_fma_f64 v[198:199], v[138:139], s[34:35], v[106:107]
	v_add_f64_e32 v[0:1], v[200:201], v[0:1]
	v_fma_f64 v[200:201], v[96:97], s[2:3], -v[114:115]
	v_add_f64_e32 v[2:3], v[202:203], v[2:3]
	v_fma_f64 v[202:203], v[138:139], s[12:13], v[116:117]
	v_add_f64_e32 v[4:5], v[204:205], v[4:5]
	v_add_f64_e32 v[6:7], v[206:207], v[6:7]
	;; [unrolled: 1-line block ×4, first 2 shown]
	v_fma_f64 v[204:205], v[84:85], s[20:21], -v[86:87]
	v_fma_f64 v[206:207], v[146:147], s[24:25], v[90:91]
	v_fma_f64 v[208:209], v[84:85], s[10:11], -v[92:93]
	v_fma_f64 v[210:211], v[146:147], s[28:29], v[94:95]
	v_add_f64_e32 v[0:1], v[196:197], v[0:1]
	v_fma_f64 v[196:197], v[84:85], s[26:27], -v[98:99]
	v_add_f64_e32 v[2:3], v[198:199], v[2:3]
	v_fma_f64 v[198:199], v[146:147], s[34:35], v[100:101]
	v_add_f64_e32 v[4:5], v[212:213], v[4:5]
	v_add_f64_e32 v[6:7], v[214:215], v[6:7]
	;; [unrolled: 1-line block ×10, first 2 shown]
	v_cmpx_gt_u32_e32 0x46, v66
	s_cbranch_execz .LBB0_15
; %bb.14:
	v_add_f64_e32 v[42:43], v[26:27], v[42:43]
	v_add_f64_e32 v[40:41], v[24:25], v[40:41]
	v_mul_f64_e32 v[196:197], s[4:5], v[108:109]
	v_mul_f64_e32 v[198:199], s[12:13], v[188:189]
	;; [unrolled: 1-line block ×16, first 2 shown]
	s_mov_b32 s1, 0x3fea55e2
	s_mov_b32 s0, s12
	v_mul_f64_e32 v[216:217], s[28:29], v[142:143]
	v_mul_f64_e32 v[220:221], s[10:11], v[104:105]
	;; [unrolled: 1-line block ×4, first 2 shown]
	v_add_f64_e32 v[42:43], v[42:43], v[50:51]
	v_add_f64_e32 v[40:41], v[40:41], v[48:49]
	v_mul_f64_e32 v[48:49], s[24:25], v[188:189]
	v_mul_f64_e32 v[50:51], s[24:25], v[186:187]
	v_add_f64_e32 v[176:177], v[196:197], v[176:177]
	v_mul_f64_e32 v[196:197], s[16:17], v[140:141]
	v_add_f64_e64 v[162:163], v[162:163], -v[198:199]
	v_mul_f64_e32 v[198:199], s[30:31], v[70:71]
	v_add_f64_e32 v[156:157], v[200:201], v[156:157]
	v_add_f64_e32 v[78:79], v[202:203], v[78:79]
	;; [unrolled: 1-line block ×3, first 2 shown]
	v_mul_f64_e32 v[222:223], s[2:3], v[140:141]
	v_fma_f64 v[200:201], v[72:73], s[10:11], v[206:207]
	v_fma_f64 v[202:203], v[170:171], s[26:27], -v[204:205]
	v_add_f64_e64 v[172:173], v[172:173], -v[218:219]
	v_add_f64_e64 v[160:161], v[160:161], -v[228:229]
	;; [unrolled: 1-line block ×3, first 2 shown]
	v_add_f64_e32 v[158:159], v[232:233], v[158:159]
	v_mul_f64_e32 v[232:233], s[24:25], v[146:147]
	s_mov_b32 s25, 0x3fcea1e5
	v_add_f64_e64 v[174:175], v[174:175], -v[226:227]
	v_mul_f64_e32 v[226:227], s[18:19], v[142:143]
	v_mul_f64_e32 v[218:219], s[16:17], v[104:105]
	;; [unrolled: 1-line block ×3, first 2 shown]
	v_add_f64_e64 v[124:125], v[124:125], -v[224:225]
	v_add_f64_e32 v[122:123], v[230:231], v[122:123]
	v_add_f64_e32 v[42:43], v[42:43], v[54:55]
	v_add_f64_e32 v[40:41], v[40:41], v[52:53]
	v_mul_f64_e32 v[52:53], s[34:35], v[188:189]
	v_mul_f64_e32 v[54:55], s[34:35], v[186:187]
	v_fma_f64 v[234:235], v[88:89], s[20:21], v[48:49]
	v_fma_f64 v[236:237], v[108:109], s[20:21], -v[50:51]
	v_fma_f64 v[48:49], v[88:89], s[20:21], -v[48:49]
	v_fma_f64 v[50:51], v[108:109], s[20:21], v[50:51]
	v_add_f64_e32 v[176:177], v[24:25], v[176:177]
	v_add_f64_e32 v[162:163], v[26:27], v[162:163]
	;; [unrolled: 1-line block ×5, first 2 shown]
	v_mul_f64_e32 v[222:223], s[2:3], v[96:97]
	v_add_f64_e64 v[90:91], v[90:91], -v[232:233]
	v_add_f64_e32 v[118:119], v[218:219], v[118:119]
	v_add_f64_e64 v[106:107], v[106:107], -v[168:169]
	v_add_f64_e32 v[42:43], v[42:43], v[62:63]
	v_add_f64_e32 v[40:41], v[40:41], v[60:61]
	v_mul_f64_e32 v[60:61], s[22:23], v[188:189]
	v_mul_f64_e32 v[62:63], s[22:23], v[186:187]
	;; [unrolled: 1-line block ×4, first 2 shown]
	v_fma_f64 v[238:239], v[88:89], s[26:27], v[52:53]
	v_fma_f64 v[240:241], v[108:109], s[26:27], -v[54:55]
	v_fma_f64 v[52:53], v[88:89], s[26:27], -v[52:53]
	v_fma_f64 v[54:55], v[108:109], s[26:27], v[54:55]
	v_add_f64_e32 v[236:237], v[24:25], v[236:237]
	v_add_f64_e32 v[48:49], v[26:27], v[48:49]
	;; [unrolled: 1-line block ×7, first 2 shown]
	v_mul_f64_e32 v[176:177], s[30:31], v[146:147]
	v_mul_f64_e32 v[162:163], s[30:31], v[134:135]
	v_add_f64_e32 v[114:115], v[222:223], v[114:115]
	v_mul_f64_e32 v[156:157], s[22:23], v[146:147]
	v_add_f64_e32 v[42:43], v[42:43], v[58:59]
	v_add_f64_e32 v[40:41], v[40:41], v[56:57]
	v_mul_f64_e32 v[56:57], s[42:43], v[178:179]
	v_fma_f64 v[242:243], v[88:89], s[16:17], v[60:61]
	v_fma_f64 v[60:61], v[88:89], s[16:17], -v[60:61]
	v_fma_f64 v[88:89], v[108:109], s[16:17], -v[62:63]
	v_fma_f64 v[62:63], v[108:109], s[16:17], v[62:63]
	v_add_f64_e64 v[184:185], v[184:185], -v[186:187]
	v_mul_f64_e32 v[186:187], s[28:29], v[70:71]
	v_mul_f64_e32 v[70:71], s[36:37], v[70:71]
	;; [unrolled: 1-line block ×3, first 2 shown]
	v_add_f64_e64 v[80:81], v[80:81], -v[188:189]
	v_mul_f64_e32 v[108:109], s[34:35], v[164:165]
	v_fma_f64 v[188:189], v[170:171], s[26:27], v[204:205]
	v_fma_f64 v[204:205], v[72:73], s[10:11], -v[206:207]
	v_fma_f64 v[206:207], v[170:171], s[2:3], v[208:209]
	v_add_f64_e32 v[240:241], v[24:25], v[240:241]
	v_add_f64_e32 v[52:53], v[26:27], v[52:53]
	;; [unrolled: 1-line block ×3, first 2 shown]
	v_mul_f64_e32 v[178:179], s[18:19], v[178:179]
	v_add_f64_e32 v[238:239], v[26:27], v[238:239]
	v_add_f64_e32 v[200:201], v[200:201], v[234:235]
	v_mul_f64_e32 v[234:235], s[12:13], v[138:139]
	v_add_f64_e32 v[42:43], v[42:43], v[46:47]
	v_add_f64_e32 v[40:41], v[40:41], v[44:45]
	v_fma_f64 v[44:45], v[72:73], s[4:5], v[210:211]
	v_fma_f64 v[46:47], v[170:171], s[2:3], -v[208:209]
	v_fma_f64 v[208:209], v[72:73], s[4:5], -v[210:211]
	v_fma_f64 v[210:211], v[170:171], s[10:11], v[212:213]
	v_fma_f64 v[170:171], v[170:171], s[10:11], -v[212:213]
	v_fma_f64 v[212:213], v[72:73], s[26:27], v[214:215]
	v_fma_f64 v[72:73], v[72:73], s[26:27], -v[214:215]
	v_add_f64_e64 v[56:57], v[182:183], -v[56:57]
	v_mul_f64_e32 v[182:183], s[12:13], v[164:165]
	v_fma_f64 v[228:229], v[140:141], s[10:11], -v[186:187]
	v_fma_f64 v[186:187], v[140:141], s[10:11], v[186:187]
	v_add_f64_e32 v[88:89], v[24:25], v[88:89]
	v_add_f64_e32 v[60:61], v[26:27], v[60:61]
	;; [unrolled: 1-line block ×5, first 2 shown]
	v_fma_f64 v[78:79], v[140:141], s[4:5], -v[198:199]
	v_fma_f64 v[198:199], v[140:141], s[4:5], v[198:199]
	v_mul_f64_e32 v[164:165], s[28:29], v[164:165]
	v_fma_f64 v[196:197], v[140:141], s[26:27], -v[70:71]
	v_fma_f64 v[70:71], v[140:141], s[26:27], v[70:71]
	v_add_f64_e32 v[242:243], v[26:27], v[242:243]
	v_add_f64_e32 v[58:59], v[58:59], v[180:181]
	v_mul_f64_e32 v[180:181], s[4:5], v[152:153]
	v_add_f64_e32 v[26:27], v[26:27], v[80:81]
	v_mul_f64_e32 v[214:215], s[22:23], v[142:143]
	v_mul_f64_e32 v[80:81], s[18:19], v[130:131]
	v_add_f64_e32 v[48:49], v[204:205], v[48:49]
	v_add_f64_e64 v[154:155], v[154:155], -v[178:179]
	v_mul_f64_e32 v[140:141], s[4:5], v[96:97]
	v_mul_f64_e32 v[204:205], s[22:23], v[128:129]
	v_add_f64_e64 v[116:117], v[116:117], -v[234:235]
	v_add_f64_e32 v[38:39], v[42:43], v[38:39]
	v_add_f64_e32 v[36:37], v[40:41], v[36:37]
	v_fma_f64 v[40:41], v[152:153], s[26:27], -v[108:109]
	v_fma_f64 v[42:43], v[152:153], s[26:27], v[108:109]
	v_add_f64_e32 v[52:53], v[208:209], v[52:53]
	s_wait_alu 0xfffe
	v_mul_f64_e32 v[208:209], s[0:1], v[142:143]
	v_mul_f64_e32 v[142:143], s[24:25], v[142:143]
	v_add_f64_e32 v[44:45], v[44:45], v[238:239]
	v_mul_f64_e32 v[238:239], s[28:29], v[128:129]
	v_mul_f64_e32 v[128:129], s[24:25], v[128:129]
	v_fma_f64 v[108:109], v[152:153], s[2:3], -v[182:183]
	v_add_f64_e32 v[228:229], v[228:229], v[236:237]
	v_add_f64_e32 v[50:51], v[186:187], v[50:51]
	v_fma_f64 v[182:183], v[152:153], s[2:3], v[182:183]
	v_add_f64_e32 v[60:61], v[72:73], v[60:61]
	v_mul_f64_e32 v[236:237], s[22:23], v[138:139]
	v_add_f64_e32 v[172:173], v[172:173], v[184:185]
	v_add_f64_e32 v[24:25], v[136:137], v[24:25]
	v_add_f64_e32 v[78:79], v[78:79], v[240:241]
	v_add_f64_e32 v[54:55], v[198:199], v[54:55]
	v_mul_f64_e32 v[198:199], s[0:1], v[130:131]
	v_mul_f64_e32 v[130:131], s[24:25], v[130:131]
	v_fma_f64 v[178:179], v[152:153], s[10:11], -v[164:165]
	v_fma_f64 v[152:153], v[152:153], s[10:11], v[164:165]
	v_add_f64_e32 v[62:63], v[70:71], v[62:63]
	v_add_f64_e32 v[212:213], v[212:213], v[242:243]
	;; [unrolled: 1-line block ×5, first 2 shown]
	v_mul_f64_e32 v[180:181], s[30:31], v[138:139]
	v_mul_f64_e32 v[186:187], s[28:29], v[138:139]
	;; [unrolled: 1-line block ×3, first 2 shown]
	v_add_f64_e64 v[120:121], v[120:121], -v[214:215]
	v_fma_f64 v[136:137], v[82:83], s[4:5], -v[226:227]
	v_add_f64_e32 v[48:49], v[202:203], v[48:49]
	v_add_f64_e32 v[58:59], v[58:59], v[166:167]
	v_mul_f64_e32 v[164:165], s[26:27], v[96:97]
	v_mul_f64_e32 v[242:243], s[10:11], v[84:85]
	v_add_f64_e32 v[34:35], v[38:39], v[34:35]
	v_add_f64_e32 v[32:33], v[36:37], v[32:33]
	v_add_f64_e64 v[36:37], v[132:133], -v[216:217]
	v_add_f64_e32 v[38:39], v[220:221], v[126:127]
	v_fma_f64 v[126:127], v[82:83], s[4:5], v[226:227]
	v_fma_f64 v[144:145], v[82:83], s[2:3], v[208:209]
	v_fma_f64 v[208:209], v[82:83], s[2:3], -v[208:209]
	v_fma_f64 v[216:217], v[82:83], s[20:21], v[142:143]
	v_fma_f64 v[82:83], v[82:83], s[20:21], -v[142:143]
	v_add_f64_e32 v[46:47], v[46:47], v[52:53]
	v_fma_f64 v[132:133], v[104:105], s[4:5], -v[80:81]
	v_add_f64_e32 v[40:41], v[40:41], v[228:229]
	v_add_f64_e32 v[42:43], v[42:43], v[50:51]
	v_fma_f64 v[80:81], v[104:105], s[4:5], v[80:81]
	v_add_f64_e32 v[52:53], v[170:171], v[60:61]
	v_add_f64_e32 v[60:61], v[174:175], v[160:161]
	;; [unrolled: 1-line block ×6, first 2 shown]
	v_fma_f64 v[214:215], v[104:105], s[2:3], -v[198:199]
	v_fma_f64 v[198:199], v[104:105], s[2:3], v[198:199]
	v_fma_f64 v[142:143], v[104:105], s[20:21], -v[130:131]
	v_fma_f64 v[104:105], v[104:105], s[20:21], v[130:131]
	v_add_f64_e32 v[130:131], v[188:189], v[200:201]
	v_add_f64_e32 v[62:63], v[152:153], v[62:63]
	;; [unrolled: 1-line block ×7, first 2 shown]
	v_mul_f64_e32 v[196:197], s[28:29], v[146:147]
	v_fma_f64 v[148:149], v[76:77], s[16:17], -v[236:237]
	v_fma_f64 v[150:151], v[96:97], s[16:17], v[204:205]
	v_fma_f64 v[152:153], v[76:77], s[10:11], v[186:187]
	v_fma_f64 v[154:155], v[96:97], s[10:11], -v[238:239]
	v_fma_f64 v[158:159], v[76:77], s[10:11], -v[186:187]
	v_add_f64_e64 v[112:113], v[112:113], -v[180:181]
	v_add_f64_e32 v[30:31], v[34:35], v[30:31]
	v_add_f64_e32 v[28:29], v[32:33], v[28:29]
	v_fma_f64 v[32:33], v[76:77], s[16:17], v[236:237]
	v_fma_f64 v[34:35], v[96:97], s[16:17], -v[204:205]
	v_add_f64_e32 v[110:111], v[140:141], v[110:111]
	v_fma_f64 v[140:141], v[76:77], s[20:21], v[138:139]
	v_fma_f64 v[76:77], v[76:77], s[20:21], -v[138:139]
	v_add_f64_e32 v[48:49], v[208:209], v[48:49]
	v_mul_f64_e32 v[72:73], s[26:27], v[84:85]
	v_mul_f64_e32 v[184:185], s[34:35], v[146:147]
	v_add_f64_e32 v[38:39], v[38:39], v[58:59]
	v_mul_f64_e32 v[70:71], s[22:23], v[134:135]
	v_mul_f64_e32 v[146:147], s[0:1], v[146:147]
	;; [unrolled: 1-line block ×3, first 2 shown]
	v_add_f64_e32 v[52:53], v[136:137], v[52:53]
	v_fma_f64 v[160:161], v[96:97], s[10:11], v[238:239]
	v_add_f64_e32 v[36:37], v[36:37], v[56:57]
	v_add_f64_e32 v[56:57], v[124:125], v[60:61]
	;; [unrolled: 1-line block ×7, first 2 shown]
	v_fma_f64 v[164:165], v[96:97], s[20:21], -v[128:129]
	v_fma_f64 v[96:97], v[96:97], s[20:21], v[128:129]
	v_add_f64_e32 v[128:129], v[144:145], v[130:131]
	v_add_f64_e32 v[58:59], v[80:81], v[62:63]
	;; [unrolled: 1-line block ×7, first 2 shown]
	v_mul_f64_e32 v[240:241], s[20:21], v[84:85]
	v_add_f64_e32 v[26:27], v[120:121], v[26:27]
	v_add_f64_e32 v[24:25], v[118:119], v[24:25]
	v_fma_f64 v[80:81], v[74:75], s[4:5], -v[176:177]
	v_fma_f64 v[82:83], v[84:85], s[4:5], v[162:163]
	v_add_f64_e64 v[94:95], v[94:95], -v[196:197]
	v_add_f64_e32 v[22:23], v[30:31], v[22:23]
	v_add_f64_e32 v[20:21], v[28:29], v[20:21]
	;; [unrolled: 1-line block ×3, first 2 shown]
	v_fma_f64 v[28:29], v[74:75], s[4:5], v[176:177]
	v_fma_f64 v[30:31], v[84:85], s[4:5], -v[162:163]
	v_fma_f64 v[88:89], v[74:75], s[16:17], v[156:157]
	v_fma_f64 v[108:109], v[74:75], s[16:17], -v[156:157]
	v_add_f64_e32 v[72:73], v[72:73], v[98:99]
	v_add_f64_e64 v[100:101], v[100:101], -v[184:185]
	v_fma_f64 v[104:105], v[84:85], s[16:17], -v[70:71]
	v_fma_f64 v[70:71], v[84:85], s[16:17], v[70:71]
	v_fma_f64 v[98:99], v[74:75], s[2:3], v[146:147]
	v_fma_f64 v[118:119], v[84:85], s[2:3], -v[134:135]
	v_fma_f64 v[74:75], v[74:75], s[2:3], -v[146:147]
	v_add_f64_e32 v[36:37], v[116:117], v[36:37]
	v_fma_f64 v[84:85], v[84:85], s[2:3], v[134:135]
	v_add_f64_e32 v[34:35], v[34:35], v[40:41]
	v_add_f64_e32 v[40:41], v[148:149], v[48:49]
	;; [unrolled: 1-line block ×36, first 2 shown]
	v_mul_u32_u24_e32 v52, 0xc0, v66
	v_add_f64_e32 v[50:51], v[90:91], v[78:79]
	v_add_f64_e32 v[48:49], v[86:87], v[96:97]
	;; [unrolled: 1-line block ×4, first 2 shown]
	v_add3_u32 v52, v194, v52, v195
	ds_store_b128 v52, v[0:3] offset:160
	ds_store_b128 v52, v[4:7] offset:176
	;; [unrolled: 1-line block ×11, first 2 shown]
	ds_store_b128 v52, v[12:15]
	ds_store_b128 v52, v[8:11] offset:192
.LBB0_15:
	s_or_b32 exec_lo, exec_lo, s33
	v_add_nc_u32_e32 v56, 0x5b, v66
	v_add_nc_u32_e32 v12, 0xb6, v66
	v_and_b32_e32 v13, 0xff, v66
	v_add_nc_u32_e32 v14, 0x111, v66
	v_add_nc_u32_e32 v16, 0x16c, v66
	v_and_b32_e32 v15, 0xff, v56
	v_and_b32_e32 v17, 0xffff, v12
	v_mul_lo_u16 v58, 0x4f, v13
	v_and_b32_e32 v13, 0xffff, v14
	s_load_b64 s[2:3], s[14:15], 0x0
	v_mul_lo_u16 v57, 0x4f, v15
	v_and_b32_e32 v15, 0xffff, v16
	v_mul_u32_u24_e32 v17, 0x4ec5, v17
	v_lshrrev_b16 v63, 10, v58
	v_mul_u32_u24_e32 v13, 0x4ec5, v13
	v_lshrrev_b16 v76, 10, v57
	v_mul_u32_u24_e32 v15, 0x4ec5, v15
	v_lshrrev_b32_e32 v77, 18, v17
	v_mul_lo_u16 v17, v63, 13
	v_lshrrev_b32_e32 v78, 18, v13
	v_mul_lo_u16 v13, v76, 13
	;; [unrolled: 2-line block ×3, first 2 shown]
	v_sub_nc_u16 v17, v66, v17
	v_mul_lo_u16 v18, v78, 13
	v_sub_nc_u16 v13, v56, v13
	v_mul_lo_u16 v19, v79, 13
	v_sub_nc_u16 v12, v12, v15
	v_and_b32_e32 v15, 0xff, v17
	v_sub_nc_u16 v14, v14, v18
	v_and_b32_e32 v13, 0xff, v13
	;; [unrolled: 2-line block ×3, first 2 shown]
	v_lshlrev_b32_e32 v80, 4, v15
	v_and_b32_e32 v17, 0xffff, v14
	v_lshlrev_b32_e32 v81, 4, v13
	v_and_b32_e32 v20, 0xffff, v16
	global_wb scope:SCOPE_SE
	s_wait_dscnt 0x0
	s_wait_kmcnt 0x0
	s_barrier_signal -1
	s_barrier_wait -1
	global_inv scope:SCOPE_SE
	v_lshlrev_b32_e32 v82, 4, v12
	global_load_b128 v[12:15], v80, s[8:9]
	v_lshlrev_b32_e32 v83, 4, v17
	global_load_b128 v[16:19], v81, s[8:9]
	v_lshlrev_b32_e32 v84, 4, v20
	s_clause 0x2
	global_load_b128 v[20:23], v82, s[8:9]
	global_load_b128 v[24:27], v83, s[8:9]
	global_load_b128 v[28:31], v84, s[8:9]
	ds_load_b128 v[32:35], v193 offset:7280
	ds_load_b128 v[36:39], v193 offset:8736
	ds_load_b128 v[40:43], v193 offset:10192
	ds_load_b128 v[44:47], v193 offset:11648
	ds_load_b128 v[48:51], v193 offset:13104
	ds_load_b128 v[52:55], v193 offset:5824
	v_cmp_gt_u32_e64 s0, 39, v66
	s_wait_loadcnt_dscnt 0x405
	v_mul_f64_e32 v[59:60], v[34:35], v[14:15]
	v_mul_f64_e32 v[14:15], v[32:33], v[14:15]
	s_wait_loadcnt_dscnt 0x304
	v_mul_f64_e32 v[61:62], v[38:39], v[18:19]
	v_mul_f64_e32 v[18:19], v[36:37], v[18:19]
	;; [unrolled: 3-line block ×5, first 2 shown]
	v_fma_f64 v[59:60], v[32:33], v[12:13], v[59:60]
	v_fma_f64 v[12:13], v[34:35], v[12:13], -v[14:15]
	v_fma_f64 v[14:15], v[36:37], v[16:17], v[61:62]
	v_fma_f64 v[16:17], v[38:39], v[16:17], -v[18:19]
	;; [unrolled: 2-line block ×5, first 2 shown]
	ds_load_b128 v[20:23], v191
	ds_load_b128 v[24:27], v193 offset:1456
	ds_load_b128 v[28:31], v193 offset:2912
	;; [unrolled: 1-line block ×3, first 2 shown]
	global_wb scope:SCOPE_SE
	s_wait_dscnt 0x0
	s_barrier_signal -1
	s_barrier_wait -1
	global_inv scope:SCOPE_SE
	v_add_f64_e64 v[36:37], v[20:21], -v[59:60]
	v_add_f64_e64 v[38:39], v[22:23], -v[12:13]
	;; [unrolled: 1-line block ×10, first 2 shown]
	v_mad_u32_u24 v59, 0x1a0, v79, 0
	s_delay_alu instid0(VALU_DEP_1)
	v_add3_u32 v59, v59, v84, v195
	v_fma_f64 v[48:49], v[20:21], 2.0, -v[36:37]
	v_fma_f64 v[50:51], v[22:23], 2.0, -v[38:39]
	;; [unrolled: 1-line block ×10, first 2 shown]
	v_and_b32_e32 v52, 0xffff, v63
	v_and_b32_e32 v53, 0xffff, v76
	v_mad_u32_u24 v54, 0x1a0, v77, 0
	v_mad_u32_u24 v55, 0x1a0, v78, 0
	s_delay_alu instid0(VALU_DEP_4) | instskip(NEXT) | instid1(VALU_DEP_4)
	v_mad_u32_u24 v52, 0x1a0, v52, 0
	v_mad_u32_u24 v53, 0x1a0, v53, 0
	s_delay_alu instid0(VALU_DEP_4) | instskip(NEXT) | instid1(VALU_DEP_4)
	v_add3_u32 v54, v54, v82, v195
	v_add3_u32 v55, v55, v83, v195
	s_delay_alu instid0(VALU_DEP_4) | instskip(NEXT) | instid1(VALU_DEP_4)
	v_add3_u32 v52, v52, v80, v195
	v_add3_u32 v53, v53, v81, v195
	ds_store_b128 v52, v[48:51]
	ds_store_b128 v52, v[36:39] offset:208
	ds_store_b128 v53, v[24:27]
	ds_store_b128 v53, v[40:43] offset:208
	;; [unrolled: 2-line block ×5, first 2 shown]
	global_wb scope:SCOPE_SE
	s_wait_dscnt 0x0
	s_barrier_signal -1
	s_barrier_wait -1
	global_inv scope:SCOPE_SE
	ds_load_b128 v[28:31], v191
	ds_load_b128 v[48:51], v193 offset:2080
	ds_load_b128 v[44:47], v193 offset:4160
	;; [unrolled: 1-line block ×6, first 2 shown]
                                        ; implicit-def: $vgpr26_vgpr27
	s_and_saveexec_b32 s1, s0
	s_cbranch_execz .LBB0_17
; %bb.16:
	ds_load_b128 v[12:15], v193 offset:1456
	ds_load_b128 v[20:23], v193 offset:3536
	;; [unrolled: 1-line block ×7, first 2 shown]
.LBB0_17:
	s_wait_alu 0xfffe
	s_or_b32 exec_lo, exec_lo, s1
	v_lshrrev_b16 v100, 11, v58
	s_mov_b32 s10, 0x37e14327
	s_mov_b32 s12, 0xe976ee23
	;; [unrolled: 1-line block ×4, first 2 shown]
	v_mul_lo_u16 v58, v100, 26
	s_mov_b32 s4, 0x429ad128
	s_mov_b32 s5, 0xbfebfeb5
	;; [unrolled: 1-line block ×4, first 2 shown]
	v_sub_nc_u16 v58, v66, v58
	s_mov_b32 s14, 0xaaaaaaaa
	s_mov_b32 s22, 0xb247c609
	;; [unrolled: 1-line block ×4, first 2 shown]
	v_and_b32_e32 v101, 0xff, v58
	s_mov_b32 s23, 0xbfd5d0dc
	s_mov_b32 s17, 0x3fe77f67
	s_mov_b32 s21, 0xbfe77f67
	s_mov_b32 s25, 0x3fd5d0dc
	v_mul_u32_u24_e32 v58, 6, v101
	s_wait_alu 0xfffe
	s_mov_b32 s20, s16
	s_mov_b32 s24, s22
	;; [unrolled: 1-line block ×4, first 2 shown]
	v_lshlrev_b32_e32 v62, 4, v58
	s_clause 0x5
	global_load_b128 v[58:61], v62, s[8:9] offset:208
	global_load_b128 v[70:73], v62, s[8:9] offset:224
	;; [unrolled: 1-line block ×6, first 2 shown]
	global_wb scope:SCOPE_SE
	s_wait_loadcnt_dscnt 0x0
	s_barrier_signal -1
	s_barrier_wait -1
	global_inv scope:SCOPE_SE
	v_mul_f64_e32 v[62:63], v[50:51], v[60:61]
	v_mul_f64_e32 v[60:61], v[48:49], v[60:61]
	;; [unrolled: 1-line block ×12, first 2 shown]
	v_fma_f64 v[48:49], v[48:49], v[58:59], v[62:63]
	v_fma_f64 v[50:51], v[50:51], v[58:59], -v[60:61]
	v_fma_f64 v[44:45], v[44:45], v[70:71], v[90:91]
	v_fma_f64 v[46:47], v[46:47], v[70:71], -v[72:73]
	;; [unrolled: 2-line block ×6, first 2 shown]
	v_add_f64_e32 v[58:59], v[48:49], v[52:53]
	v_add_f64_e32 v[60:61], v[50:51], v[54:55]
	;; [unrolled: 1-line block ×4, first 2 shown]
	v_add_f64_e64 v[40:41], v[44:45], -v[40:41]
	v_add_f64_e64 v[42:43], v[46:47], -v[42:43]
	v_add_f64_e32 v[44:45], v[36:37], v[32:33]
	v_add_f64_e32 v[46:47], v[38:39], v[34:35]
	v_add_f64_e64 v[32:33], v[32:33], -v[36:37]
	v_add_f64_e64 v[34:35], v[34:35], -v[38:39]
	;; [unrolled: 1-line block ×4, first 2 shown]
	v_add_f64_e32 v[48:49], v[62:63], v[58:59]
	v_add_f64_e32 v[50:51], v[70:71], v[60:61]
	v_add_f64_e64 v[52:53], v[58:59], -v[44:45]
	v_add_f64_e64 v[54:55], v[60:61], -v[46:47]
	;; [unrolled: 1-line block ×6, first 2 shown]
	v_add_f64_e32 v[40:41], v[32:33], v[40:41]
	v_add_f64_e32 v[42:43], v[34:35], v[42:43]
	v_add_f64_e64 v[32:33], v[36:37], -v[32:33]
	v_add_f64_e64 v[34:35], v[38:39], -v[34:35]
	;; [unrolled: 1-line block ×4, first 2 shown]
	v_add_f64_e32 v[48:49], v[44:45], v[48:49]
	v_add_f64_e32 v[50:51], v[46:47], v[50:51]
	v_add_f64_e64 v[44:45], v[44:45], -v[62:63]
	v_add_f64_e64 v[46:47], v[46:47], -v[70:71]
	v_mul_f64_e32 v[52:53], s[10:11], v[52:53]
	v_mul_f64_e32 v[54:55], s[10:11], v[54:55]
	;; [unrolled: 1-line block ×6, first 2 shown]
	v_add_f64_e32 v[36:37], v[40:41], v[36:37]
	v_add_f64_e32 v[38:39], v[42:43], v[38:39]
	;; [unrolled: 1-line block ×4, first 2 shown]
	v_mul_f64_e32 v[62:63], s[18:19], v[44:45]
	v_mul_f64_e32 v[70:71], s[18:19], v[46:47]
	v_fma_f64 v[40:41], v[44:45], s[18:19], v[52:53]
	v_fma_f64 v[42:43], v[46:47], s[18:19], v[54:55]
	;; [unrolled: 1-line block ×4, first 2 shown]
	v_fma_f64 v[72:73], v[76:77], s[4:5], -v[72:73]
	v_fma_f64 v[74:75], v[78:79], s[4:5], -v[74:75]
	s_wait_alu 0xfffe
	v_fma_f64 v[32:33], v[32:33], s[24:25], -v[80:81]
	v_fma_f64 v[34:35], v[34:35], s[24:25], -v[82:83]
	;; [unrolled: 1-line block ×4, first 2 shown]
	v_fma_f64 v[48:49], v[48:49], s[14:15], v[28:29]
	v_fma_f64 v[50:51], v[50:51], s[14:15], v[30:31]
	v_fma_f64 v[58:59], v[58:59], s[16:17], -v[62:63]
	v_fma_f64 v[60:61], v[60:61], s[16:17], -v[70:71]
	v_fma_f64 v[62:63], v[36:37], s[26:27], v[44:45]
	v_fma_f64 v[70:71], v[38:39], s[26:27], v[46:47]
	v_fma_f64 v[46:47], v[36:37], s[26:27], v[72:73]
	v_fma_f64 v[44:45], v[38:39], s[26:27], v[74:75]
	v_fma_f64 v[72:73], v[36:37], s[26:27], v[32:33]
	v_fma_f64 v[74:75], v[38:39], s[26:27], v[34:35]
	v_add_f64_e32 v[76:77], v[40:41], v[48:49]
	v_add_f64_e32 v[78:79], v[42:43], v[50:51]
	;; [unrolled: 1-line block ×6, first 2 shown]
	v_and_b32_e32 v58, 0xffff, v100
	v_lshlrev_b32_e32 v59, 4, v101
	s_delay_alu instid0(VALU_DEP_2) | instskip(NEXT) | instid1(VALU_DEP_1)
	v_mad_u32_u24 v58, 0xb60, v58, 0
	v_add3_u32 v58, v58, v59, v195
	v_add_f64_e32 v[32:33], v[70:71], v[76:77]
	v_add_f64_e64 v[34:35], v[78:79], -v[62:63]
	v_add_f64_e32 v[36:37], v[74:75], v[52:53]
	v_add_f64_e64 v[38:39], v[54:55], -v[72:73]
	v_add_f64_e64 v[40:41], v[48:49], -v[44:45]
	v_add_f64_e32 v[42:43], v[46:47], v[50:51]
	v_add_f64_e32 v[44:45], v[44:45], v[48:49]
	v_add_f64_e64 v[46:47], v[50:51], -v[46:47]
	v_add_f64_e64 v[48:49], v[52:53], -v[74:75]
	v_add_f64_e32 v[50:51], v[72:73], v[54:55]
	v_add_f64_e64 v[52:53], v[76:77], -v[70:71]
	v_add_f64_e32 v[54:55], v[62:63], v[78:79]
	ds_store_b128 v58, v[28:31]
	ds_store_b128 v58, v[32:35] offset:416
	ds_store_b128 v58, v[36:39] offset:832
	;; [unrolled: 1-line block ×6, first 2 shown]
	s_and_saveexec_b32 s1, s0
	s_cbranch_execz .LBB0_19
; %bb.18:
	v_lshrrev_b16 v63, 11, v57
	s_delay_alu instid0(VALU_DEP_1) | instskip(NEXT) | instid1(VALU_DEP_1)
	v_mul_lo_u16 v28, v63, 26
	v_sub_nc_u16 v28, v56, v28
	s_delay_alu instid0(VALU_DEP_1) | instskip(NEXT) | instid1(VALU_DEP_1)
	v_and_b32_e32 v72, 0xff, v28
	v_mul_u32_u24_e32 v28, 6, v72
	s_delay_alu instid0(VALU_DEP_1)
	v_lshlrev_b32_e32 v48, 4, v28
	s_clause 0x5
	global_load_b128 v[28:31], v48, s[8:9] offset:224
	global_load_b128 v[32:35], v48, s[8:9] offset:272
	;; [unrolled: 1-line block ×6, first 2 shown]
	s_wait_loadcnt 0x5
	v_mul_f64_e32 v[52:53], v[16:17], v[30:31]
	s_wait_loadcnt 0x4
	v_mul_f64_e32 v[54:55], v[8:9], v[34:35]
	;; [unrolled: 2-line block ×4, first 2 shown]
	v_mul_f64_e32 v[30:31], v[18:19], v[30:31]
	v_mul_f64_e32 v[34:35], v[10:11], v[34:35]
	;; [unrolled: 1-line block ×4, first 2 shown]
	s_wait_loadcnt 0x1
	v_mul_f64_e32 v[61:62], v[6:7], v[46:47]
	s_wait_loadcnt 0x0
	v_mul_f64_e32 v[70:71], v[2:3], v[50:51]
	v_mul_f64_e32 v[50:51], v[0:1], v[50:51]
	;; [unrolled: 1-line block ×3, first 2 shown]
	v_fma_f64 v[18:19], v[18:19], v[28:29], -v[52:53]
	v_fma_f64 v[10:11], v[10:11], v[32:33], -v[54:55]
	;; [unrolled: 1-line block ×4, first 2 shown]
	v_fma_f64 v[16:17], v[16:17], v[28:29], v[30:31]
	v_fma_f64 v[8:9], v[8:9], v[32:33], v[34:35]
	;; [unrolled: 1-line block ×6, first 2 shown]
	v_fma_f64 v[2:3], v[2:3], v[48:49], -v[50:51]
	v_fma_f64 v[6:7], v[6:7], v[44:45], -v[46:47]
	v_add_f64_e32 v[28:29], v[18:19], v[10:11]
	v_add_f64_e32 v[30:31], v[22:23], v[26:27]
	;; [unrolled: 1-line block ×3, first 2 shown]
	v_add_f64_e64 v[8:9], v[16:17], -v[8:9]
	v_add_f64_e32 v[34:35], v[20:21], v[24:25]
	v_add_f64_e64 v[36:37], v[4:5], -v[0:1]
	v_add_f64_e32 v[0:1], v[0:1], v[4:5]
	v_add_f64_e32 v[16:17], v[2:3], v[6:7]
	v_add_f64_e64 v[4:5], v[20:21], -v[24:25]
	v_add_f64_e64 v[2:3], v[6:7], -v[2:3]
	;; [unrolled: 1-line block ×4, first 2 shown]
	v_add_f64_e32 v[20:21], v[28:29], v[30:31]
	v_add_f64_e32 v[18:19], v[32:33], v[34:35]
	v_add_f64_e64 v[22:23], v[36:37], -v[8:9]
	v_add_f64_e64 v[26:27], v[34:35], -v[0:1]
	;; [unrolled: 1-line block ×7, first 2 shown]
	v_add_f64_e32 v[8:9], v[36:37], v[8:9]
	v_add_f64_e64 v[36:37], v[4:5], -v[36:37]
	v_add_f64_e32 v[6:7], v[2:3], v[6:7]
	v_add_f64_e64 v[48:49], v[10:11], -v[2:3]
	;; [unrolled: 2-line block ×3, first 2 shown]
	v_add_f64_e32 v[18:19], v[0:1], v[18:19]
	v_mul_f64_e32 v[22:23], s[12:13], v[22:23]
	v_mul_f64_e32 v[26:27], s[10:11], v[26:27]
	;; [unrolled: 1-line block ×4, first 2 shown]
	v_add_f64_e32 v[4:5], v[8:9], v[4:5]
	v_add_f64_e32 v[6:7], v[6:7], v[10:11]
	;; [unrolled: 1-line block ×3, first 2 shown]
	v_add_f64_e64 v[14:15], v[28:29], -v[30:31]
	v_mul_f64_e32 v[28:29], s[18:19], v[16:17]
	v_mul_f64_e32 v[30:31], s[12:13], v[40:41]
	v_add_f64_e32 v[0:1], v[12:13], v[18:19]
	v_mul_f64_e32 v[40:41], s[4:5], v[42:43]
	v_add_f64_e64 v[12:13], v[32:33], -v[34:35]
	v_mul_f64_e32 v[32:33], s[18:19], v[44:45]
	v_fma_f64 v[8:9], v[36:37], s[22:23], v[22:23]
	v_fma_f64 v[10:11], v[16:17], s[18:19], v[24:25]
	;; [unrolled: 1-line block ×3, first 2 shown]
	v_fma_f64 v[34:35], v[36:37], s[24:25], -v[46:47]
	v_fma_f64 v[22:23], v[38:39], s[4:5], -v[22:23]
	v_fma_f64 v[20:21], v[20:21], s[14:15], v[2:3]
	v_fma_f64 v[24:25], v[14:15], s[20:21], -v[24:25]
	v_fma_f64 v[14:15], v[14:15], s[16:17], -v[28:29]
	v_fma_f64 v[28:29], v[48:49], s[22:23], v[30:31]
	v_fma_f64 v[18:19], v[18:19], s[14:15], v[0:1]
	v_fma_f64 v[36:37], v[48:49], s[24:25], -v[40:41]
	v_fma_f64 v[26:27], v[12:13], s[20:21], -v[26:27]
	;; [unrolled: 1-line block ×4, first 2 shown]
	v_fma_f64 v[8:9], v[4:5], s[26:27], v[8:9]
	v_fma_f64 v[32:33], v[4:5], s[26:27], v[34:35]
	;; [unrolled: 1-line block ×3, first 2 shown]
	v_add_f64_e32 v[34:35], v[10:11], v[20:21]
	v_add_f64_e32 v[22:23], v[24:25], v[20:21]
	;; [unrolled: 1-line block ×3, first 2 shown]
	v_fma_f64 v[28:29], v[6:7], s[26:27], v[28:29]
	v_add_f64_e32 v[38:39], v[16:17], v[18:19]
	v_fma_f64 v[36:37], v[6:7], s[26:27], v[36:37]
	v_add_f64_e32 v[40:41], v[26:27], v[18:19]
	;; [unrolled: 2-line block ×3, first 2 shown]
	v_add_f64_e64 v[26:27], v[34:35], -v[8:9]
	v_add_f64_e32 v[10:11], v[32:33], v[22:23]
	v_add_f64_e64 v[14:15], v[20:21], -v[4:5]
	v_add_f64_e32 v[18:19], v[4:5], v[20:21]
	v_add_f64_e32 v[24:25], v[28:29], v[38:39]
	v_add_f64_e64 v[22:23], v[22:23], -v[32:33]
	v_add_f64_e32 v[20:21], v[36:37], v[40:41]
	;; [unrolled: 3-line block ×3, first 2 shown]
	v_add_f64_e64 v[8:9], v[40:41], -v[36:37]
	v_add_f64_e64 v[4:5], v[38:39], -v[28:29]
	v_and_b32_e32 v28, 0xffff, v63
	v_lshlrev_b32_e32 v29, 4, v72
	s_delay_alu instid0(VALU_DEP_2) | instskip(NEXT) | instid1(VALU_DEP_1)
	v_mad_u32_u24 v28, 0xb60, v28, 0
	v_add3_u32 v28, v28, v29, v195
	ds_store_b128 v28, v[0:3]
	ds_store_b128 v28, v[24:27] offset:416
	ds_store_b128 v28, v[20:23] offset:832
	;; [unrolled: 1-line block ×6, first 2 shown]
.LBB0_19:
	s_wait_alu 0xfffe
	s_or_b32 exec_lo, exec_lo, s1
	v_dual_mov_b32 v2, 0 :: v_dual_lshlrev_b32 v1, 2, v66
	global_wb scope:SCOPE_SE
	s_wait_dscnt 0x0
	s_barrier_signal -1
	s_barrier_wait -1
	global_inv scope:SCOPE_SE
	v_lshlrev_b64_e32 v[3:4], 4, v[1:2]
	v_lshlrev_b32_e32 v1, 2, v56
	s_mov_b32 s5, 0x3fee6f0e
	s_delay_alu instid0(VALU_DEP_1) | instskip(NEXT) | instid1(VALU_DEP_3)
	v_lshlrev_b64_e32 v[0:1], 4, v[1:2]
	v_add_co_u32 v15, s0, s8, v3
	s_wait_alu 0xf1ff
	v_add_co_ci_u32_e64 v16, s0, s9, v4, s0
	s_clause 0x2
	global_load_b128 v[3:6], v[15:16], off offset:2736
	global_load_b128 v[7:10], v[15:16], off offset:2720
	global_load_b128 v[11:14], v[15:16], off offset:2704
	v_add_co_u32 v0, s0, s8, v0
	s_wait_alu 0xf1ff
	v_add_co_ci_u32_e64 v1, s0, s9, v1, s0
	s_clause 0x4
	global_load_b128 v[15:18], v[15:16], off offset:2752
	global_load_b128 v[19:22], v[0:1], off offset:2704
	;; [unrolled: 1-line block ×5, first 2 shown]
	ds_load_b128 v[35:38], v193 offset:2912
	ds_load_b128 v[39:42], v193 offset:5824
	;; [unrolled: 1-line block ×8, first 2 shown]
	s_mov_b32 s0, 0x134454ff
	s_mov_b32 s1, 0xbfee6f0e
	s_wait_alu 0xfffe
	s_mov_b32 s4, s0
	s_wait_loadcnt_dscnt 0x705
	v_mul_f64_e32 v[76:77], v[45:46], v[5:6]
	s_wait_loadcnt 0x6
	v_mul_f64_e32 v[74:75], v[41:42], v[9:10]
	s_wait_loadcnt 0x5
	v_mul_f64_e32 v[0:1], v[37:38], v[13:14]
	v_mul_f64_e32 v[13:14], v[35:36], v[13:14]
	;; [unrolled: 1-line block ×4, first 2 shown]
	s_wait_loadcnt_dscnt 0x404
	v_mul_f64_e32 v[78:79], v[49:50], v[17:18]
	v_mul_f64_e32 v[17:18], v[47:48], v[17:18]
	s_wait_loadcnt_dscnt 0x202
	v_mul_f64_e32 v[82:83], v[57:58], v[25:26]
	s_wait_loadcnt_dscnt 0x101
	v_mul_f64_e32 v[84:85], v[61:62], v[29:30]
	v_mul_f64_e32 v[25:26], v[55:56], v[25:26]
	;; [unrolled: 1-line block ×4, first 2 shown]
	s_wait_loadcnt_dscnt 0x0
	v_mul_f64_e32 v[86:87], v[72:73], v[33:34]
	v_mul_f64_e32 v[21:22], v[51:52], v[21:22]
	;; [unrolled: 1-line block ×3, first 2 shown]
	v_fma_f64 v[0:1], v[35:36], v[11:12], v[0:1]
	v_fma_f64 v[35:36], v[39:40], v[7:8], v[74:75]
	;; [unrolled: 1-line block ×3, first 2 shown]
	v_fma_f64 v[11:12], v[37:38], v[11:12], -v[13:14]
	v_fma_f64 v[37:38], v[41:42], v[7:8], -v[9:10]
	;; [unrolled: 1-line block ×3, first 2 shown]
	v_fma_f64 v[13:14], v[47:48], v[15:16], v[78:79]
	v_fma_f64 v[15:16], v[49:50], v[15:16], -v[17:18]
	v_fma_f64 v[43:44], v[55:56], v[23:24], v[82:83]
	v_fma_f64 v[45:46], v[59:60], v[27:28], v[84:85]
	v_fma_f64 v[23:24], v[57:58], v[23:24], -v[25:26]
	v_fma_f64 v[27:28], v[61:62], v[27:28], -v[29:30]
	v_fma_f64 v[17:18], v[51:52], v[19:20], v[80:81]
	v_fma_f64 v[25:26], v[70:71], v[31:32], v[86:87]
	v_fma_f64 v[19:20], v[53:54], v[19:20], -v[21:22]
	v_fma_f64 v[21:22], v[72:73], v[31:32], -v[33:34]
	ds_load_b128 v[3:6], v191
	ds_load_b128 v[7:10], v193 offset:1456
	global_wb scope:SCOPE_SE
	s_wait_dscnt 0x0
	s_barrier_signal -1
	s_barrier_wait -1
	global_inv scope:SCOPE_SE
	v_add_f64_e32 v[57:58], v[3:4], v[0:1]
	v_add_f64_e32 v[29:30], v[35:36], v[39:40]
	;; [unrolled: 1-line block ×3, first 2 shown]
	v_add_f64_e64 v[86:87], v[11:12], -v[37:38]
	v_add_f64_e32 v[33:34], v[37:38], v[41:42]
	v_add_f64_e32 v[31:32], v[0:1], v[13:14]
	;; [unrolled: 1-line block ×3, first 2 shown]
	v_add_f64_e64 v[59:60], v[11:12], -v[15:16]
	v_add_f64_e32 v[49:50], v[43:44], v[45:46]
	v_add_f64_e64 v[76:77], v[0:1], -v[13:14]
	v_add_f64_e32 v[53:54], v[23:24], v[27:28]
	v_add_f64_e32 v[72:73], v[7:8], v[17:18]
	;; [unrolled: 1-line block ×5, first 2 shown]
	v_add_f64_e64 v[61:62], v[37:38], -v[41:42]
	v_add_f64_e64 v[78:79], v[19:20], -v[21:22]
	;; [unrolled: 1-line block ×16, first 2 shown]
	v_fma_f64 v[29:30], v[29:30], -0.5, v[3:4]
	v_add_f64_e32 v[37:38], v[70:71], v[37:38]
	v_fma_f64 v[33:34], v[33:34], -0.5, v[5:6]
	v_fma_f64 v[3:4], v[31:32], -0.5, v[3:4]
	v_add_f64_e64 v[31:32], v[35:36], -v[39:40]
	v_fma_f64 v[5:6], v[47:48], -0.5, v[5:6]
	v_fma_f64 v[49:50], v[49:50], -0.5, v[7:8]
	v_add_f64_e64 v[47:48], v[23:24], -v[27:28]
	v_fma_f64 v[53:54], v[53:54], -0.5, v[9:10]
	v_fma_f64 v[7:8], v[51:52], -0.5, v[7:8]
	v_add_f64_e64 v[51:52], v[43:44], -v[45:46]
	v_fma_f64 v[9:10], v[55:56], -0.5, v[9:10]
	v_add_f64_e64 v[55:56], v[0:1], -v[35:36]
	v_add_f64_e64 v[0:1], v[35:36], -v[0:1]
	v_add_f64_e32 v[35:36], v[57:58], v[35:36]
	v_add_f64_e32 v[43:44], v[72:73], v[43:44]
	;; [unrolled: 1-line block ×3, first 2 shown]
	v_fma_f64 v[57:58], v[59:60], s[0:1], v[29:30]
	s_wait_alu 0xfffe
	v_fma_f64 v[29:30], v[59:60], s[4:5], v[29:30]
	v_fma_f64 v[72:73], v[76:77], s[4:5], v[33:34]
	;; [unrolled: 1-line block ×15, first 2 shown]
	s_mov_b32 s0, 0x4755a5e
	s_mov_b32 s1, 0xbfe2cf23
	;; [unrolled: 1-line block ×3, first 2 shown]
	s_wait_alu 0xfffe
	s_mov_b32 s4, s0
	v_add_f64_e32 v[55:56], v[55:56], v[82:83]
	v_add_f64_e32 v[0:1], v[0:1], v[84:85]
	;; [unrolled: 1-line block ×12, first 2 shown]
	v_fma_f64 v[27:28], v[61:62], s[0:1], v[57:58]
	s_wait_alu 0xfffe
	v_fma_f64 v[29:30], v[61:62], s[4:5], v[29:30]
	v_fma_f64 v[39:40], v[31:32], s[4:5], v[72:73]
	;; [unrolled: 1-line block ×15, first 2 shown]
	s_mov_b32 s0, 0x372fe950
	s_mov_b32 s1, 0x3fd3c6ef
	v_add_f64_e32 v[3:4], v[11:12], v[13:14]
	v_add_f64_e32 v[5:6], v[17:18], v[15:16]
	v_add_f64_e32 v[7:8], v[19:20], v[25:26]
	v_add_f64_e32 v[9:10], v[23:24], v[21:22]
	s_wait_alu 0xfffe
	v_fma_f64 v[11:12], v[55:56], s[0:1], v[27:28]
	v_fma_f64 v[15:16], v[55:56], s[0:1], v[29:30]
	;; [unrolled: 1-line block ×16, first 2 shown]
	v_lshl_add_u32 v0, v67, 4, v194
	s_mov_b32 s1, exec_lo
	ds_store_b128 v193, v[3:6]
	ds_store_b128 v193, v[7:10] offset:1456
	ds_store_b128 v193, v[11:14] offset:2912
	;; [unrolled: 1-line block ×9, first 2 shown]
	global_wb scope:SCOPE_SE
	s_wait_dscnt 0x0
	s_barrier_signal -1
	s_barrier_wait -1
	global_inv scope:SCOPE_SE
	ds_load_b128 v[4:7], v191
	v_sub_nc_u32_e32 v14, v190, v192
                                        ; implicit-def: $vgpr0_vgpr1
                                        ; implicit-def: $vgpr8_vgpr9
                                        ; implicit-def: $vgpr10_vgpr11
                                        ; implicit-def: $vgpr12_vgpr13
	v_cmpx_ne_u32_e32 0, v66
	s_wait_alu 0xfffe
	s_xor_b32 s1, exec_lo, s1
	s_cbranch_execz .LBB0_21
; %bb.20:
	v_mov_b32_e32 v67, v2
	s_delay_alu instid0(VALU_DEP_1) | instskip(NEXT) | instid1(VALU_DEP_1)
	v_lshlrev_b64_e32 v[0:1], 4, v[66:67]
	v_add_co_u32 v0, s0, s8, v0
	s_wait_alu 0xf1ff
	s_delay_alu instid0(VALU_DEP_2)
	v_add_co_ci_u32_e64 v1, s0, s9, v1, s0
	global_load_b128 v[15:18], v[0:1], off offset:14352
	ds_load_b128 v[0:3], v14 offset:14560
	s_wait_dscnt 0x0
	v_add_f64_e64 v[8:9], v[4:5], -v[0:1]
	v_add_f64_e32 v[10:11], v[6:7], v[2:3]
	v_add_f64_e64 v[2:3], v[6:7], -v[2:3]
	v_add_f64_e32 v[0:1], v[4:5], v[0:1]
	s_delay_alu instid0(VALU_DEP_4) | instskip(NEXT) | instid1(VALU_DEP_4)
	v_mul_f64_e32 v[6:7], 0.5, v[8:9]
	v_mul_f64_e32 v[4:5], 0.5, v[10:11]
	s_delay_alu instid0(VALU_DEP_4) | instskip(SKIP_1) | instid1(VALU_DEP_3)
	v_mul_f64_e32 v[2:3], 0.5, v[2:3]
	s_wait_loadcnt 0x0
	v_mul_f64_e32 v[8:9], v[6:7], v[17:18]
	s_delay_alu instid0(VALU_DEP_2) | instskip(SKIP_1) | instid1(VALU_DEP_3)
	v_fma_f64 v[10:11], v[4:5], v[17:18], v[2:3]
	v_fma_f64 v[2:3], v[4:5], v[17:18], -v[2:3]
	v_fma_f64 v[12:13], v[0:1], 0.5, v[8:9]
	v_fma_f64 v[0:1], v[0:1], 0.5, -v[8:9]
	s_delay_alu instid0(VALU_DEP_4) | instskip(NEXT) | instid1(VALU_DEP_4)
	v_fma_f64 v[10:11], -v[15:16], v[6:7], v[10:11]
	v_fma_f64 v[2:3], -v[15:16], v[6:7], v[2:3]
	s_delay_alu instid0(VALU_DEP_4) | instskip(NEXT) | instid1(VALU_DEP_4)
	v_fma_f64 v[8:9], v[4:5], v[15:16], v[12:13]
	v_fma_f64 v[0:1], -v[4:5], v[15:16], v[0:1]
	v_dual_mov_b32 v12, v66 :: v_dual_mov_b32 v13, v67
                                        ; implicit-def: $vgpr4_vgpr5
.LBB0_21:
	s_wait_alu 0xfffe
	s_and_not1_saveexec_b32 s0, s1
	s_cbranch_execz .LBB0_23
; %bb.22:
	s_wait_dscnt 0x0
	v_add_f64_e32 v[8:9], v[4:5], v[6:7]
	v_add_f64_e64 v[0:1], v[4:5], -v[6:7]
	ds_load_b64 v[4:5], v190 offset:7288
	v_mov_b32_e32 v10, 0
	v_dual_mov_b32 v11, 0 :: v_dual_mov_b32 v12, 0
	s_delay_alu instid0(VALU_DEP_2) | instskip(NEXT) | instid1(VALU_DEP_2)
	v_dual_mov_b32 v13, 0 :: v_dual_mov_b32 v2, v10
	v_mov_b32_e32 v3, v11
	s_wait_dscnt 0x0
	v_xor_b32_e32 v5, 0x80000000, v5
	ds_store_b64 v190, v[4:5] offset:7288
.LBB0_23:
	s_wait_alu 0xfffe
	s_or_b32 exec_lo, exec_lo, s0
	s_wait_dscnt 0x0
	v_lshlrev_b64_e32 v[4:5], 4, v[12:13]
	s_add_nc_u64 s[0:1], s[8:9], 0x3810
	s_wait_alu 0xfffe
	s_delay_alu instid0(VALU_DEP_1) | instskip(SKIP_1) | instid1(VALU_DEP_2)
	v_add_co_u32 v12, s0, s0, v4
	s_wait_alu 0xf1ff
	v_add_co_ci_u32_e64 v13, s0, s1, v5, s0
	s_clause 0x1
	global_load_b128 v[4:7], v[12:13], off offset:1456
	global_load_b128 v[15:18], v[12:13], off offset:2912
	ds_store_2addr_b64 v191, v[8:9], v[10:11] offset1:1
	ds_store_b128 v14, v[0:3] offset:14560
	ds_load_b128 v[0:3], v191 offset:1456
	ds_load_b128 v[8:11], v14 offset:13104
	s_wait_dscnt 0x0
	v_add_f64_e64 v[19:20], v[0:1], -v[8:9]
	v_add_f64_e32 v[21:22], v[2:3], v[10:11]
	v_add_f64_e64 v[2:3], v[2:3], -v[10:11]
	v_add_f64_e32 v[0:1], v[0:1], v[8:9]
	s_delay_alu instid0(VALU_DEP_4) | instskip(NEXT) | instid1(VALU_DEP_4)
	v_mul_f64_e32 v[10:11], 0.5, v[19:20]
	v_mul_f64_e32 v[19:20], 0.5, v[21:22]
	s_delay_alu instid0(VALU_DEP_4) | instskip(SKIP_1) | instid1(VALU_DEP_3)
	v_mul_f64_e32 v[2:3], 0.5, v[2:3]
	s_wait_loadcnt 0x1
	v_mul_f64_e32 v[8:9], v[10:11], v[6:7]
	s_delay_alu instid0(VALU_DEP_2) | instskip(SKIP_1) | instid1(VALU_DEP_3)
	v_fma_f64 v[21:22], v[19:20], v[6:7], v[2:3]
	v_fma_f64 v[2:3], v[19:20], v[6:7], -v[2:3]
	v_fma_f64 v[6:7], v[0:1], 0.5, v[8:9]
	v_fma_f64 v[0:1], v[0:1], 0.5, -v[8:9]
	s_delay_alu instid0(VALU_DEP_4) | instskip(NEXT) | instid1(VALU_DEP_4)
	v_fma_f64 v[8:9], -v[4:5], v[10:11], v[21:22]
	v_fma_f64 v[2:3], -v[4:5], v[10:11], v[2:3]
	s_delay_alu instid0(VALU_DEP_4) | instskip(NEXT) | instid1(VALU_DEP_4)
	v_fma_f64 v[10:11], v[19:20], v[4:5], v[6:7]
	v_fma_f64 v[0:1], -v[19:20], v[4:5], v[0:1]
	global_load_b128 v[4:7], v[12:13], off offset:4368
	ds_store_2addr_b64 v191, v[10:11], v[8:9] offset0:182 offset1:183
	ds_store_b128 v14, v[0:3] offset:13104
	ds_load_b128 v[0:3], v191 offset:2912
	ds_load_b128 v[8:11], v14 offset:11648
	s_wait_dscnt 0x0
	v_add_f64_e64 v[19:20], v[0:1], -v[8:9]
	v_add_f64_e32 v[21:22], v[2:3], v[10:11]
	v_add_f64_e64 v[2:3], v[2:3], -v[10:11]
	v_add_f64_e32 v[0:1], v[0:1], v[8:9]
	s_delay_alu instid0(VALU_DEP_4) | instskip(NEXT) | instid1(VALU_DEP_4)
	v_mul_f64_e32 v[10:11], 0.5, v[19:20]
	v_mul_f64_e32 v[19:20], 0.5, v[21:22]
	s_delay_alu instid0(VALU_DEP_4) | instskip(SKIP_1) | instid1(VALU_DEP_3)
	v_mul_f64_e32 v[2:3], 0.5, v[2:3]
	s_wait_loadcnt 0x1
	v_mul_f64_e32 v[8:9], v[10:11], v[17:18]
	s_delay_alu instid0(VALU_DEP_2) | instskip(SKIP_1) | instid1(VALU_DEP_3)
	v_fma_f64 v[21:22], v[19:20], v[17:18], v[2:3]
	v_fma_f64 v[2:3], v[19:20], v[17:18], -v[2:3]
	v_fma_f64 v[17:18], v[0:1], 0.5, v[8:9]
	v_fma_f64 v[0:1], v[0:1], 0.5, -v[8:9]
	s_delay_alu instid0(VALU_DEP_4) | instskip(NEXT) | instid1(VALU_DEP_4)
	v_fma_f64 v[21:22], -v[15:16], v[10:11], v[21:22]
	v_fma_f64 v[2:3], -v[15:16], v[10:11], v[2:3]
	global_load_b128 v[8:11], v[12:13], off offset:5824
	v_add_nc_u32_e32 v12, 0x800, v191
	v_fma_f64 v[17:18], v[19:20], v[15:16], v[17:18]
	v_fma_f64 v[0:1], -v[19:20], v[15:16], v[0:1]
	ds_store_2addr_b64 v12, v[17:18], v[21:22] offset0:108 offset1:109
	ds_store_b128 v14, v[0:3] offset:11648
	ds_load_b128 v[0:3], v191 offset:4368
	ds_load_b128 v[15:18], v14 offset:10192
	s_wait_dscnt 0x0
	v_add_f64_e64 v[12:13], v[0:1], -v[15:16]
	v_add_f64_e32 v[19:20], v[2:3], v[17:18]
	v_add_f64_e64 v[2:3], v[2:3], -v[17:18]
	v_add_f64_e32 v[0:1], v[0:1], v[15:16]
	s_delay_alu instid0(VALU_DEP_4) | instskip(NEXT) | instid1(VALU_DEP_4)
	v_mul_f64_e32 v[12:13], 0.5, v[12:13]
	v_mul_f64_e32 v[17:18], 0.5, v[19:20]
	s_delay_alu instid0(VALU_DEP_4) | instskip(SKIP_1) | instid1(VALU_DEP_3)
	v_mul_f64_e32 v[2:3], 0.5, v[2:3]
	s_wait_loadcnt 0x1
	v_mul_f64_e32 v[15:16], v[12:13], v[6:7]
	s_delay_alu instid0(VALU_DEP_2) | instskip(SKIP_1) | instid1(VALU_DEP_3)
	v_fma_f64 v[19:20], v[17:18], v[6:7], v[2:3]
	v_fma_f64 v[2:3], v[17:18], v[6:7], -v[2:3]
	v_fma_f64 v[6:7], v[0:1], 0.5, v[15:16]
	v_fma_f64 v[0:1], v[0:1], 0.5, -v[15:16]
	s_delay_alu instid0(VALU_DEP_4) | instskip(NEXT) | instid1(VALU_DEP_4)
	v_fma_f64 v[15:16], -v[4:5], v[12:13], v[19:20]
	v_fma_f64 v[2:3], -v[4:5], v[12:13], v[2:3]
	s_delay_alu instid0(VALU_DEP_4) | instskip(NEXT) | instid1(VALU_DEP_4)
	v_fma_f64 v[6:7], v[17:18], v[4:5], v[6:7]
	v_fma_f64 v[0:1], -v[17:18], v[4:5], v[0:1]
	v_add_nc_u32_e32 v17, 0x1000, v191
	ds_store_2addr_b64 v17, v[6:7], v[15:16] offset0:34 offset1:35
	ds_store_b128 v14, v[0:3] offset:10192
	ds_load_b128 v[0:3], v191 offset:5824
	ds_load_b128 v[4:7], v14 offset:8736
	s_wait_dscnt 0x0
	v_add_f64_e64 v[12:13], v[0:1], -v[4:5]
	v_add_f64_e32 v[15:16], v[2:3], v[6:7]
	v_add_f64_e64 v[2:3], v[2:3], -v[6:7]
	v_add_f64_e32 v[0:1], v[0:1], v[4:5]
	s_delay_alu instid0(VALU_DEP_4) | instskip(NEXT) | instid1(VALU_DEP_4)
	v_mul_f64_e32 v[6:7], 0.5, v[12:13]
	v_mul_f64_e32 v[12:13], 0.5, v[15:16]
	s_delay_alu instid0(VALU_DEP_4) | instskip(SKIP_1) | instid1(VALU_DEP_3)
	v_mul_f64_e32 v[2:3], 0.5, v[2:3]
	s_wait_loadcnt 0x0
	v_mul_f64_e32 v[4:5], v[6:7], v[10:11]
	s_delay_alu instid0(VALU_DEP_2) | instskip(SKIP_1) | instid1(VALU_DEP_3)
	v_fma_f64 v[15:16], v[12:13], v[10:11], v[2:3]
	v_fma_f64 v[2:3], v[12:13], v[10:11], -v[2:3]
	v_fma_f64 v[10:11], v[0:1], 0.5, v[4:5]
	v_fma_f64 v[0:1], v[0:1], 0.5, -v[4:5]
	s_delay_alu instid0(VALU_DEP_4) | instskip(NEXT) | instid1(VALU_DEP_4)
	v_fma_f64 v[4:5], -v[8:9], v[6:7], v[15:16]
	v_fma_f64 v[2:3], -v[8:9], v[6:7], v[2:3]
	s_delay_alu instid0(VALU_DEP_4) | instskip(NEXT) | instid1(VALU_DEP_4)
	v_fma_f64 v[6:7], v[12:13], v[8:9], v[10:11]
	v_fma_f64 v[0:1], -v[12:13], v[8:9], v[0:1]
	ds_store_2addr_b64 v17, v[6:7], v[4:5] offset0:216 offset1:217
	ds_store_b128 v14, v[0:3] offset:8736
	global_wb scope:SCOPE_SE
	s_wait_dscnt 0x0
	s_barrier_signal -1
	s_barrier_wait -1
	global_inv scope:SCOPE_SE
	s_and_saveexec_b32 s0, vcc_lo
	s_cbranch_execz .LBB0_26
; %bb.24:
	v_mul_lo_u32 v2, s3, v68
	v_mul_lo_u32 v3, s2, v69
	v_mad_co_u64_u32 v[0:1], null, s2, v68, 0
	v_mov_b32_e32 v67, 0
	v_lshlrev_b64_e32 v[11:12], 4, v[64:65]
	v_add_nc_u32_e32 v13, 0x5b, v66
	v_add_nc_u32_e32 v25, 0x1c7, v66
	s_delay_alu instid0(VALU_DEP_4)
	v_dual_mov_b32 v28, v67 :: v_dual_add_nc_u32 v27, 0x222, v66
	v_add3_u32 v1, v1, v3, v2
	v_lshl_add_u32 v2, v66, 4, v190
	v_mov_b32_e32 v14, v67
	ds_load_b128 v[3:6], v2
	ds_load_b128 v[7:10], v2 offset:1456
	v_lshlrev_b64_e32 v[0:1], 4, v[0:1]
	v_lshlrev_b64_e32 v[15:16], 4, v[66:67]
	v_mov_b32_e32 v26, v67
	s_delay_alu instid0(VALU_DEP_3) | instskip(SKIP_1) | instid1(VALU_DEP_4)
	v_add_co_u32 v0, vcc_lo, s6, v0
	s_wait_alu 0xfffd
	v_add_co_ci_u32_e32 v1, vcc_lo, s7, v1, vcc_lo
	s_delay_alu instid0(VALU_DEP_3) | instskip(NEXT) | instid1(VALU_DEP_3)
	v_lshlrev_b64_e32 v[25:26], 4, v[25:26]
	v_add_co_u32 v0, vcc_lo, v0, v11
	s_wait_alu 0xfffd
	s_delay_alu instid0(VALU_DEP_3) | instskip(SKIP_1) | instid1(VALU_DEP_3)
	v_add_co_ci_u32_e32 v1, vcc_lo, v1, v12, vcc_lo
	v_lshlrev_b64_e32 v[11:12], 4, v[13:14]
	v_add_co_u32 v13, vcc_lo, v0, v15
	s_wait_alu 0xfffd
	s_delay_alu instid0(VALU_DEP_3) | instskip(SKIP_1) | instid1(VALU_DEP_4)
	v_add_co_ci_u32_e32 v14, vcc_lo, v1, v16, vcc_lo
	v_dual_mov_b32 v16, v67 :: v_dual_add_nc_u32 v15, 0xb6, v66
	v_add_co_u32 v11, vcc_lo, v0, v11
	s_wait_alu 0xfffd
	v_add_co_ci_u32_e32 v12, vcc_lo, v1, v12, vcc_lo
	s_wait_dscnt 0x1
	global_store_b128 v[13:14], v[3:6], off
	s_wait_dscnt 0x0
	global_store_b128 v[11:12], v[7:10], off
	v_lshlrev_b64_e32 v[3:4], 4, v[15:16]
	v_dual_mov_b32 v12, v67 :: v_dual_add_nc_u32 v11, 0x111, v66
	v_dual_mov_b32 v14, v67 :: v_dual_add_nc_u32 v13, 0x16c, v66
	s_delay_alu instid0(VALU_DEP_3) | instskip(SKIP_1) | instid1(VALU_DEP_4)
	v_add_co_u32 v19, vcc_lo, v0, v3
	s_wait_alu 0xfffd
	v_add_co_ci_u32_e32 v20, vcc_lo, v1, v4, vcc_lo
	ds_load_b128 v[3:6], v2 offset:2912
	ds_load_b128 v[7:10], v2 offset:4368
	v_lshlrev_b64_e32 v[21:22], 4, v[11:12]
	v_lshlrev_b64_e32 v[23:24], 4, v[13:14]
	ds_load_b128 v[11:14], v2 offset:5824
	ds_load_b128 v[15:18], v2 offset:7280
	v_add_co_u32 v21, vcc_lo, v0, v21
	s_wait_alu 0xfffd
	v_add_co_ci_u32_e32 v22, vcc_lo, v1, v22, vcc_lo
	v_add_co_u32 v23, vcc_lo, v0, v23
	s_wait_alu 0xfffd
	v_add_co_ci_u32_e32 v24, vcc_lo, v1, v24, vcc_lo
	;; [unrolled: 3-line block ×3, first 2 shown]
	s_wait_dscnt 0x3
	global_store_b128 v[19:20], v[3:6], off
	s_wait_dscnt 0x2
	global_store_b128 v[21:22], v[7:10], off
	;; [unrolled: 2-line block ×4, first 2 shown]
	v_lshlrev_b64_e32 v[3:4], 4, v[27:28]
	v_dual_mov_b32 v12, v67 :: v_dual_add_nc_u32 v11, 0x27d, v66
	v_dual_mov_b32 v14, v67 :: v_dual_add_nc_u32 v13, 0x2d8, v66
	v_dual_mov_b32 v26, v67 :: v_dual_add_nc_u32 v25, 0x333, v66
	s_delay_alu instid0(VALU_DEP_4)
	v_add_co_u32 v19, vcc_lo, v0, v3
	s_wait_alu 0xfffd
	v_add_co_ci_u32_e32 v20, vcc_lo, v1, v4, vcc_lo
	ds_load_b128 v[3:6], v2 offset:8736
	ds_load_b128 v[7:10], v2 offset:10192
	v_lshlrev_b64_e32 v[21:22], 4, v[11:12]
	v_lshlrev_b64_e32 v[23:24], 4, v[13:14]
	ds_load_b128 v[11:14], v2 offset:11648
	ds_load_b128 v[15:18], v2 offset:13104
	v_lshlrev_b64_e32 v[25:26], 4, v[25:26]
	v_add_co_u32 v21, vcc_lo, v0, v21
	s_wait_alu 0xfffd
	v_add_co_ci_u32_e32 v22, vcc_lo, v1, v22, vcc_lo
	v_add_co_u32 v23, vcc_lo, v0, v23
	s_wait_alu 0xfffd
	v_add_co_ci_u32_e32 v24, vcc_lo, v1, v24, vcc_lo
	;; [unrolled: 3-line block ×3, first 2 shown]
	v_cmp_eq_u32_e32 vcc_lo, 0x5a, v66
	s_wait_dscnt 0x3
	global_store_b128 v[19:20], v[3:6], off
	s_wait_dscnt 0x2
	global_store_b128 v[21:22], v[7:10], off
	s_wait_dscnt 0x1
	global_store_b128 v[23:24], v[11:14], off
	s_wait_dscnt 0x0
	global_store_b128 v[25:26], v[15:18], off
	s_and_b32 exec_lo, exec_lo, vcc_lo
	s_cbranch_execz .LBB0_26
; %bb.25:
	ds_load_b128 v[2:5], v2 offset:13120
	s_wait_dscnt 0x0
	global_store_b128 v[0:1], v[2:5], off offset:14560
.LBB0_26:
	s_nop 0
	s_sendmsg sendmsg(MSG_DEALLOC_VGPRS)
	s_endpgm
	.section	.rodata,"a",@progbits
	.p2align	6, 0x0
	.amdhsa_kernel fft_rtc_back_len910_factors_13_2_7_5_wgs_182_tpt_91_dp_op_CI_CI_unitstride_sbrr_R2C_dirReg
		.amdhsa_group_segment_fixed_size 0
		.amdhsa_private_segment_fixed_size 0
		.amdhsa_kernarg_size 104
		.amdhsa_user_sgpr_count 2
		.amdhsa_user_sgpr_dispatch_ptr 0
		.amdhsa_user_sgpr_queue_ptr 0
		.amdhsa_user_sgpr_kernarg_segment_ptr 1
		.amdhsa_user_sgpr_dispatch_id 0
		.amdhsa_user_sgpr_private_segment_size 0
		.amdhsa_wavefront_size32 1
		.amdhsa_uses_dynamic_stack 0
		.amdhsa_enable_private_segment 0
		.amdhsa_system_sgpr_workgroup_id_x 1
		.amdhsa_system_sgpr_workgroup_id_y 0
		.amdhsa_system_sgpr_workgroup_id_z 0
		.amdhsa_system_sgpr_workgroup_info 0
		.amdhsa_system_vgpr_workitem_id 0
		.amdhsa_next_free_vgpr 244
		.amdhsa_next_free_sgpr 44
		.amdhsa_reserve_vcc 1
		.amdhsa_float_round_mode_32 0
		.amdhsa_float_round_mode_16_64 0
		.amdhsa_float_denorm_mode_32 3
		.amdhsa_float_denorm_mode_16_64 3
		.amdhsa_fp16_overflow 0
		.amdhsa_workgroup_processor_mode 1
		.amdhsa_memory_ordered 1
		.amdhsa_forward_progress 0
		.amdhsa_round_robin_scheduling 0
		.amdhsa_exception_fp_ieee_invalid_op 0
		.amdhsa_exception_fp_denorm_src 0
		.amdhsa_exception_fp_ieee_div_zero 0
		.amdhsa_exception_fp_ieee_overflow 0
		.amdhsa_exception_fp_ieee_underflow 0
		.amdhsa_exception_fp_ieee_inexact 0
		.amdhsa_exception_int_div_zero 0
	.end_amdhsa_kernel
	.text
.Lfunc_end0:
	.size	fft_rtc_back_len910_factors_13_2_7_5_wgs_182_tpt_91_dp_op_CI_CI_unitstride_sbrr_R2C_dirReg, .Lfunc_end0-fft_rtc_back_len910_factors_13_2_7_5_wgs_182_tpt_91_dp_op_CI_CI_unitstride_sbrr_R2C_dirReg
                                        ; -- End function
	.section	.AMDGPU.csdata,"",@progbits
; Kernel info:
; codeLenInByte = 11248
; NumSgprs: 46
; NumVgprs: 244
; ScratchSize: 0
; MemoryBound: 0
; FloatMode: 240
; IeeeMode: 1
; LDSByteSize: 0 bytes/workgroup (compile time only)
; SGPRBlocks: 5
; VGPRBlocks: 30
; NumSGPRsForWavesPerEU: 46
; NumVGPRsForWavesPerEU: 244
; Occupancy: 5
; WaveLimiterHint : 1
; COMPUTE_PGM_RSRC2:SCRATCH_EN: 0
; COMPUTE_PGM_RSRC2:USER_SGPR: 2
; COMPUTE_PGM_RSRC2:TRAP_HANDLER: 0
; COMPUTE_PGM_RSRC2:TGID_X_EN: 1
; COMPUTE_PGM_RSRC2:TGID_Y_EN: 0
; COMPUTE_PGM_RSRC2:TGID_Z_EN: 0
; COMPUTE_PGM_RSRC2:TIDIG_COMP_CNT: 0
	.text
	.p2alignl 7, 3214868480
	.fill 96, 4, 3214868480
	.type	__hip_cuid_5e6bb808c51efdf9,@object ; @__hip_cuid_5e6bb808c51efdf9
	.section	.bss,"aw",@nobits
	.globl	__hip_cuid_5e6bb808c51efdf9
__hip_cuid_5e6bb808c51efdf9:
	.byte	0                               ; 0x0
	.size	__hip_cuid_5e6bb808c51efdf9, 1

	.ident	"AMD clang version 19.0.0git (https://github.com/RadeonOpenCompute/llvm-project roc-6.4.0 25133 c7fe45cf4b819c5991fe208aaa96edf142730f1d)"
	.section	".note.GNU-stack","",@progbits
	.addrsig
	.addrsig_sym __hip_cuid_5e6bb808c51efdf9
	.amdgpu_metadata
---
amdhsa.kernels:
  - .args:
      - .actual_access:  read_only
        .address_space:  global
        .offset:         0
        .size:           8
        .value_kind:     global_buffer
      - .offset:         8
        .size:           8
        .value_kind:     by_value
      - .actual_access:  read_only
        .address_space:  global
        .offset:         16
        .size:           8
        .value_kind:     global_buffer
      - .actual_access:  read_only
        .address_space:  global
        .offset:         24
        .size:           8
        .value_kind:     global_buffer
      - .actual_access:  read_only
        .address_space:  global
        .offset:         32
        .size:           8
        .value_kind:     global_buffer
      - .offset:         40
        .size:           8
        .value_kind:     by_value
      - .actual_access:  read_only
        .address_space:  global
        .offset:         48
        .size:           8
        .value_kind:     global_buffer
      - .actual_access:  read_only
        .address_space:  global
        .offset:         56
        .size:           8
        .value_kind:     global_buffer
      - .offset:         64
        .size:           4
        .value_kind:     by_value
      - .actual_access:  read_only
        .address_space:  global
        .offset:         72
        .size:           8
        .value_kind:     global_buffer
      - .actual_access:  read_only
        .address_space:  global
        .offset:         80
        .size:           8
        .value_kind:     global_buffer
      - .actual_access:  read_only
        .address_space:  global
        .offset:         88
        .size:           8
        .value_kind:     global_buffer
      - .actual_access:  write_only
        .address_space:  global
        .offset:         96
        .size:           8
        .value_kind:     global_buffer
    .group_segment_fixed_size: 0
    .kernarg_segment_align: 8
    .kernarg_segment_size: 104
    .language:       OpenCL C
    .language_version:
      - 2
      - 0
    .max_flat_workgroup_size: 182
    .name:           fft_rtc_back_len910_factors_13_2_7_5_wgs_182_tpt_91_dp_op_CI_CI_unitstride_sbrr_R2C_dirReg
    .private_segment_fixed_size: 0
    .sgpr_count:     46
    .sgpr_spill_count: 0
    .symbol:         fft_rtc_back_len910_factors_13_2_7_5_wgs_182_tpt_91_dp_op_CI_CI_unitstride_sbrr_R2C_dirReg.kd
    .uniform_work_group_size: 1
    .uses_dynamic_stack: false
    .vgpr_count:     244
    .vgpr_spill_count: 0
    .wavefront_size: 32
    .workgroup_processor_mode: 1
amdhsa.target:   amdgcn-amd-amdhsa--gfx1201
amdhsa.version:
  - 1
  - 2
...

	.end_amdgpu_metadata
